;; amdgpu-corpus repo=ROCm/rocFFT kind=compiled arch=gfx90a opt=O3
	.text
	.amdgcn_target "amdgcn-amd-amdhsa--gfx90a"
	.amdhsa_code_object_version 6
	.protected	bluestein_single_fwd_len2160_dim1_dp_op_CI_CI ; -- Begin function bluestein_single_fwd_len2160_dim1_dp_op_CI_CI
	.globl	bluestein_single_fwd_len2160_dim1_dp_op_CI_CI
	.p2align	8
	.type	bluestein_single_fwd_len2160_dim1_dp_op_CI_CI,@function
bluestein_single_fwd_len2160_dim1_dp_op_CI_CI: ; @bluestein_single_fwd_len2160_dim1_dp_op_CI_CI
; %bb.0:
	s_load_dwordx4 s[12:15], s[4:5], 0x28
	s_mov_b64 s[26:27], s[2:3]
	s_mov_b64 s[24:25], s[0:1]
	v_mul_u32_u24_e32 v1, 0x445, v0
	s_add_u32 s24, s24, s7
	v_add_u32_sdwa v6, s6, v1 dst_sel:DWORD dst_unused:UNUSED_PAD src0_sel:DWORD src1_sel:WORD_1
	v_mov_b32_e32 v7, 0
	s_addc_u32 s25, s25, 0
	s_waitcnt lgkmcnt(0)
	v_cmp_gt_u64_e32 vcc, s[12:13], v[6:7]
	s_and_saveexec_b64 s[0:1], vcc
	s_cbranch_execz .LBB0_15
; %bb.1:
	s_load_dwordx4 s[8:11], s[4:5], 0x18
	s_load_dwordx2 s[6:7], s[4:5], 0x0
	v_mov_b32_e32 v2, 60
	v_mul_lo_u16_sdwa v1, v1, v2 dst_sel:DWORD dst_unused:UNUSED_PAD src0_sel:WORD_1 src1_sel:DWORD
	v_sub_u16_e32 v204, v0, v1
	s_waitcnt lgkmcnt(0)
	s_load_dwordx4 s[0:3], s[8:9], 0x0
	v_lshlrev_b32_e32 v164, 4, v204
	global_load_dwordx4 v[78:81], v164, s[6:7]
	v_accvgpr_write_b32 a88, v6
	v_or_b32_e32 v14, 0x6c0, v204
	s_waitcnt lgkmcnt(0)
	v_mad_u64_u32 v[0:1], s[8:9], s2, v6, 0
	v_mov_b32_e32 v4, v1
	v_mad_u64_u32 v[2:3], s[8:9], s0, v204, 0
	v_mad_u64_u32 v[4:5], s[2:3], s3, v6, v[4:5]
	v_mov_b32_e32 v1, v4
	v_mov_b32_e32 v4, v3
	v_mad_u64_u32 v[4:5], s[2:3], s1, v204, v[4:5]
	v_lshlrev_b64 v[0:1], 4, v[0:1]
	v_mov_b32_e32 v3, v4
	v_mov_b32_e32 v4, s15
	v_add_co_u32_e32 v70, vcc, s14, v0
	v_addc_co_u32_e32 v71, vcc, v4, v1, vcc
	v_lshlrev_b64 v[0:1], 4, v[2:3]
	v_add_co_u32_e32 v0, vcc, v70, v0
	v_addc_co_u32_e32 v1, vcc, v71, v1, vcc
	s_mul_i32 s2, s1, 0xd8
	s_mul_hi_u32 s3, s0, 0xd8
	v_mov_b32_e32 v2, s7
	v_add_co_u32_e32 v94, vcc, s6, v164
	s_add_i32 s3, s3, s2
	s_mul_i32 s2, s0, 0xd8
	v_addc_co_u32_e32 v95, vcc, 0, v2, vcc
	s_lshl_b64 s[12:13], s[2:3], 4
	v_mov_b32_e32 v72, s13
	v_add_co_u32_e32 v2, vcc, s12, v0
	v_addc_co_u32_e32 v3, vcc, v1, v72, vcc
	global_load_dwordx4 v[52:55], v[0:1], off
	global_load_dwordx4 v[4:7], v[2:3], off
	global_load_dwordx4 v[82:85], v164, s[6:7] offset:3456
	v_add_co_u32_e32 v0, vcc, s12, v2
	v_addc_co_u32_e32 v1, vcc, v3, v72, vcc
	s_movk_i32 s2, 0x1000
	v_add_co_u32_e32 v62, vcc, s2, v94
	v_addc_co_u32_e32 v63, vcc, 0, v95, vcc
	global_load_dwordx4 v[24:27], v[0:1], off
	v_add_co_u32_e32 v0, vcc, s12, v0
	v_addc_co_u32_e32 v1, vcc, v1, v72, vcc
	s_movk_i32 s2, 0x2000
	v_add_co_u32_e32 v56, vcc, s2, v94
	v_addc_co_u32_e32 v57, vcc, 0, v95, vcc
	global_load_dwordx4 v[16:19], v[0:1], off
	;; [unrolled: 6-line block ×4, first 2 shown]
	v_add_co_u32_e32 v0, vcc, s12, v0
	v_addc_co_u32_e32 v1, vcc, v1, v72, vcc
	s_movk_i32 s2, 0x5000
	v_add_co_u32_e32 v60, vcc, s2, v94
	v_addc_co_u32_e32 v61, vcc, 0, v95, vcc
	v_add_co_u32_e32 v12, vcc, s12, v0
	global_load_dwordx4 v[48:51], v[0:1], off
	v_addc_co_u32_e32 v13, vcc, v1, v72, vcc
	v_mad_u64_u32 v[0:1], s[2:3], s0, v14, 0
	v_mov_b32_e32 v2, v1
	v_mad_u64_u32 v[2:3], s[2:3], s1, v14, v[2:3]
	v_mov_b32_e32 v1, v2
	v_lshlrev_b64 v[0:1], 4, v[0:1]
	v_mov_b32_e32 v73, 0x1b00
	v_add_co_u32_e32 v0, vcc, v70, v0
	v_mad_u64_u32 v[20:21], s[2:3], s0, v73, v[12:13]
	v_addc_co_u32_e32 v1, vcc, v71, v1, vcc
	s_movk_i32 s2, 0x7000
	s_mul_hi_u32 s3, s0, 0xfffff8a4
	v_add_co_u32_e32 v66, vcc, s2, v94
	s_mul_i32 s2, s1, 0xfffff8a4
	s_sub_i32 s3, s3, s0
	s_mul_i32 s16, s1, 0x1b00
	s_add_i32 s3, s3, s2
	s_mul_i32 s2, s0, 0xfffff8a4
	global_load_dwordx4 v[86:89], v[62:63], off offset:2816
	global_load_dwordx4 v[104:107], v[60:61], off offset:256
	;; [unrolled: 1-line block ×5, first 2 shown]
	global_load_dwordx4 v[8:11], v[12:13], off
	global_load_dwordx4 v[108:111], v[60:61], off offset:3712
	v_add_u32_e32 v21, s16, v21
	buffer_store_dword v14, off, s[24:27], 0 offset:48 ; 4-byte Folded Spill
	v_lshlrev_b32_e32 v14, 4, v14
	v_addc_co_u32_e32 v67, vcc, 0, v95, vcc
	s_lshl_b64 s[14:15], s[2:3], 4
	buffer_store_dword v14, off, s[24:27], 0 offset:384 ; 4-byte Folded Spill
	global_load_dwordx4 v[112:115], v14, s[6:7]
	v_mov_b32_e32 v74, s15
	global_load_dwordx4 v[12:15], v[20:21], off
	v_add_co_u32_e32 v20, vcc, s14, v20
	v_addc_co_u32_e32 v21, vcc, v21, v74, vcc
	global_load_dwordx4 v[0:3], v[0:1], off
	s_waitcnt vmcnt(19)
	v_mul_f64 v[76:77], v[54:55], v[80:81]
	global_load_dwordx4 v[116:119], v[66:67], off offset:2432
	global_load_dwordx4 v[28:31], v[20:21], off
	global_load_dwordx4 v[120:123], v164, s[6:7] offset:960
	v_add_co_u32_e32 v20, vcc, s12, v20
	v_addc_co_u32_e32 v21, vcc, v21, v72, vcc
	global_load_dwordx4 v[36:39], v[20:21], off
	global_load_dwordx4 v[124:127], v[62:63], off offset:320
	v_add_co_u32_e32 v20, vcc, s12, v20
	v_addc_co_u32_e32 v21, vcc, v21, v72, vcc
	v_add_co_u32_e32 v68, vcc, s12, v20
	v_addc_co_u32_e32 v69, vcc, v21, v72, vcc
	global_load_dwordx4 v[44:47], v[20:21], off
	global_load_dwordx4 v[128:131], v[62:63], off offset:3776
	s_nop 0
	global_load_dwordx4 v[20:23], v[68:69], off
	global_load_dwordx4 v[132:135], v[56:57], off offset:3136
	s_load_dwordx2 s[2:3], s[4:5], 0x38
	s_nop 0
	s_load_dwordx4 s[8:11], s[10:11], 0x0
	v_fmac_f64_e32 v[76:77], v[52:53], v[78:79]
	v_mul_f64 v[52:53], v[52:53], v[80:81]
	buffer_store_dword v78, off, s[24:27], 0 ; 4-byte Folded Spill
	s_nop 0
	buffer_store_dword v79, off, s[24:27], 0 offset:4 ; 4-byte Folded Spill
	buffer_store_dword v80, off, s[24:27], 0 offset:8 ; 4-byte Folded Spill
	;; [unrolled: 1-line block ×3, first 2 shown]
	global_load_dwordx4 v[136:139], v164, s[6:7] offset:1920
	s_movk_i32 s17, 0x6000
	v_accvgpr_write_b32 a0, v94
	v_accvgpr_write_b32 a1, v95
	v_fma_f64 v[78:79], v[54:55], v[78:79], -v[52:53]
	s_waitcnt vmcnt(31)
	v_mul_f64 v[52:53], v[6:7], v[84:85]
	ds_write_b128 v164, v[76:79]
	v_fmac_f64_e32 v[52:53], v[4:5], v[82:83]
	v_mul_f64 v[4:5], v[4:5], v[84:85]
	buffer_store_dword v82, off, s[24:27], 0 offset:32 ; 4-byte Folded Spill
	s_nop 0
	buffer_store_dword v83, off, s[24:27], 0 offset:36 ; 4-byte Folded Spill
	buffer_store_dword v84, off, s[24:27], 0 offset:40 ; 4-byte Folded Spill
	;; [unrolled: 1-line block ×3, first 2 shown]
	v_fma_f64 v[54:55], v[6:7], v[82:83], -v[4:5]
	s_waitcnt vmcnt(29)
	v_mul_f64 v[4:5], v[26:27], v[88:89]
	ds_write_b128 v164, v[52:55] offset:3456
	v_fmac_f64_e32 v[4:5], v[24:25], v[86:87]
	v_mul_f64 v[6:7], v[24:25], v[88:89]
	buffer_store_dword v86, off, s[24:27], 0 offset:16 ; 4-byte Folded Spill
	s_nop 0
	buffer_store_dword v87, off, s[24:27], 0 offset:20 ; 4-byte Folded Spill
	buffer_store_dword v88, off, s[24:27], 0 offset:24 ; 4-byte Folded Spill
	;; [unrolled: 1-line block ×3, first 2 shown]
	global_load_dwordx4 v[140:143], v[56:57], off offset:640
	v_fma_f64 v[6:7], v[26:27], v[86:87], -v[6:7]
	ds_write_b128 v164, v[4:7] offset:6912
	s_waitcnt vmcnt(32)
	v_mul_f64 v[4:5], v[18:19], v[92:93]
	v_fmac_f64_e32 v[4:5], v[16:17], v[90:91]
	v_mul_f64 v[6:7], v[16:17], v[92:93]
	buffer_store_dword v90, off, s[24:27], 0 offset:112 ; 4-byte Folded Spill
	s_nop 0
	buffer_store_dword v91, off, s[24:27], 0 offset:116 ; 4-byte Folded Spill
	buffer_store_dword v92, off, s[24:27], 0 offset:120 ; 4-byte Folded Spill
	;; [unrolled: 1-line block ×3, first 2 shown]
	global_load_dwordx4 v[148:151], v[64:65], off offset:2496
	v_fma_f64 v[6:7], v[18:19], v[90:91], -v[6:7]
	ds_write_b128 v164, v[4:7] offset:10368
	s_waitcnt vmcnt(35)
	v_mul_f64 v[4:5], v[34:35], v[98:99]
	v_fmac_f64_e32 v[4:5], v[32:33], v[96:97]
	v_mul_f64 v[6:7], v[32:33], v[98:99]
	buffer_store_dword v96, off, s[24:27], 0 offset:96 ; 4-byte Folded Spill
	s_nop 0
	buffer_store_dword v97, off, s[24:27], 0 offset:100 ; 4-byte Folded Spill
	buffer_store_dword v98, off, s[24:27], 0 offset:104 ; 4-byte Folded Spill
	buffer_store_dword v99, off, s[24:27], 0 offset:108 ; 4-byte Folded Spill
	global_load_dwordx4 v[144:147], v[58:59], off offset:1856
	v_fma_f64 v[6:7], v[34:35], v[96:97], -v[6:7]
	ds_write_b128 v164, v[4:7] offset:13824
	v_mul_f64 v[4:5], v[42:43], v[102:103]
	v_fmac_f64_e32 v[4:5], v[40:41], v[100:101]
	v_mul_f64 v[6:7], v[40:41], v[102:103]
	buffer_store_dword v100, off, s[24:27], 0 offset:80 ; 4-byte Folded Spill
	s_nop 0
	buffer_store_dword v101, off, s[24:27], 0 offset:84 ; 4-byte Folded Spill
	buffer_store_dword v102, off, s[24:27], 0 offset:88 ; 4-byte Folded Spill
	buffer_store_dword v103, off, s[24:27], 0 offset:92 ; 4-byte Folded Spill
	global_load_dwordx4 v[96:99], v[60:61], off offset:1216
	v_fma_f64 v[6:7], v[42:43], v[100:101], -v[6:7]
	ds_write_b128 v164, v[4:7] offset:17280
	;; [unrolled: 11-line block ×3, first 2 shown]
	s_waitcnt vmcnt(48)
	v_mul_f64 v[4:5], v[10:11], v[110:111]
	v_fmac_f64_e32 v[4:5], v[8:9], v[108:109]
	v_mul_f64 v[6:7], v[8:9], v[110:111]
	buffer_store_dword v108, off, s[24:27], 0 offset:128 ; 4-byte Folded Spill
	s_nop 0
	buffer_store_dword v109, off, s[24:27], 0 offset:132 ; 4-byte Folded Spill
	buffer_store_dword v110, off, s[24:27], 0 offset:136 ; 4-byte Folded Spill
	;; [unrolled: 1-line block ×3, first 2 shown]
	global_load_dwordx4 v[104:107], v[66:67], off offset:896
	s_waitcnt vmcnt(39)
	v_mul_f64 v[8:9], v[22:23], v[134:135]
	v_fmac_f64_e32 v[8:9], v[20:21], v[132:133]
	v_fma_f64 v[6:7], v[10:11], v[108:109], -v[6:7]
	ds_write_b128 v164, v[4:7] offset:24192
	v_mul_f64 v[4:5], v[2:3], v[114:115]
	v_fmac_f64_e32 v[4:5], v[0:1], v[112:113]
	v_mul_f64 v[0:1], v[0:1], v[114:115]
	buffer_store_dword v112, off, s[24:27], 0 offset:288 ; 4-byte Folded Spill
	s_nop 0
	buffer_store_dword v113, off, s[24:27], 0 offset:292 ; 4-byte Folded Spill
	buffer_store_dword v114, off, s[24:27], 0 offset:296 ; 4-byte Folded Spill
	;; [unrolled: 1-line block ×3, first 2 shown]
	v_or_b32_e32 v10, 0x300, v204
	v_fma_f64 v[6:7], v[2:3], v[112:113], -v[0:1]
	v_mul_f64 v[0:1], v[14:15], v[118:119]
	ds_write_b128 v164, v[4:7] offset:27648
	global_load_dwordx4 v[112:115], v[66:67], off offset:3392
	v_fmac_f64_e32 v[0:1], v[12:13], v[116:117]
	v_mul_f64 v[2:3], v[12:13], v[118:119]
	buffer_store_dword v116, off, s[24:27], 0 offset:240 ; 4-byte Folded Spill
	s_nop 0
	buffer_store_dword v117, off, s[24:27], 0 offset:244 ; 4-byte Folded Spill
	buffer_store_dword v118, off, s[24:27], 0 offset:248 ; 4-byte Folded Spill
	;; [unrolled: 1-line block ×3, first 2 shown]
	v_fma_f64 v[2:3], v[14:15], v[116:117], -v[2:3]
	ds_write_b128 v164, v[0:3] offset:31104
	v_mul_f64 v[0:1], v[30:31], v[122:123]
	v_fmac_f64_e32 v[0:1], v[28:29], v[120:121]
	v_mul_f64 v[2:3], v[28:29], v[122:123]
	buffer_store_dword v120, off, s[24:27], 0 offset:176 ; 4-byte Folded Spill
	s_nop 0
	buffer_store_dword v121, off, s[24:27], 0 offset:180 ; 4-byte Folded Spill
	buffer_store_dword v122, off, s[24:27], 0 offset:184 ; 4-byte Folded Spill
	;; [unrolled: 1-line block ×3, first 2 shown]
	global_load_dwordx4 v[108:111], v[62:63], off offset:1280
	v_fma_f64 v[2:3], v[30:31], v[120:121], -v[2:3]
	ds_write_b128 v164, v[0:3] offset:960
	v_mul_f64 v[0:1], v[38:39], v[126:127]
	v_fmac_f64_e32 v[0:1], v[36:37], v[124:125]
	v_mul_f64 v[2:3], v[36:37], v[126:127]
	buffer_store_dword v124, off, s[24:27], 0 offset:160 ; 4-byte Folded Spill
	s_nop 0
	buffer_store_dword v125, off, s[24:27], 0 offset:164 ; 4-byte Folded Spill
	buffer_store_dword v126, off, s[24:27], 0 offset:168 ; 4-byte Folded Spill
	;; [unrolled: 1-line block ×3, first 2 shown]
	v_fma_f64 v[2:3], v[38:39], v[124:125], -v[2:3]
	ds_write_b128 v164, v[0:3] offset:4416
	v_mul_f64 v[0:1], v[46:47], v[130:131]
	v_fmac_f64_e32 v[0:1], v[44:45], v[128:129]
	v_mul_f64 v[2:3], v[44:45], v[130:131]
	buffer_store_dword v128, off, s[24:27], 0 offset:144 ; 4-byte Folded Spill
	s_nop 0
	buffer_store_dword v129, off, s[24:27], 0 offset:148 ; 4-byte Folded Spill
	buffer_store_dword v130, off, s[24:27], 0 offset:152 ; 4-byte Folded Spill
	buffer_store_dword v131, off, s[24:27], 0 offset:156 ; 4-byte Folded Spill
	v_fma_f64 v[2:3], v[46:47], v[128:129], -v[2:3]
	ds_write_b128 v164, v[0:3] offset:7872
	v_add_co_u32_e32 v0, vcc, s12, v68
	v_addc_co_u32_e32 v1, vcc, v69, v72, vcc
	global_load_dwordx4 v[12:15], v[0:1], off
	v_add_co_u32_e32 v0, vcc, s12, v0
	v_addc_co_u32_e32 v1, vcc, v1, v72, vcc
	global_load_dwordx4 v[16:19], v[0:1], off
	;; [unrolled: 3-line block ×3, first 2 shown]
	v_add_co_u32_e32 v0, vcc, s12, v0
	v_addc_co_u32_e32 v1, vcc, v1, v72, vcc
	v_add_co_u32_e32 v4, vcc, s17, v94
	v_addc_co_u32_e32 v5, vcc, 0, v95, vcc
	global_load_dwordx4 v[28:31], v[0:1], off
	v_add_co_u32_e32 v0, vcc, s12, v0
	v_addc_co_u32_e32 v1, vcc, v1, v72, vcc
	global_load_dwordx4 v[160:163], v[4:5], off offset:576
	global_load_dwordx4 v[32:35], v[0:1], off
	global_load_dwordx4 v[156:159], v[4:5], off offset:4032
	v_add_co_u32_e32 v0, vcc, s12, v0
	v_addc_co_u32_e32 v1, vcc, v1, v72, vcc
	global_load_dwordx4 v[36:39], v[0:1], off
	v_add_co_u32_e32 v0, vcc, s14, v0
	v_addc_co_u32_e32 v1, vcc, v1, v74, vcc
	v_mad_u64_u32 v[2:3], s[18:19], s0, v10, 0
	global_load_dwordx4 v[40:43], v[0:1], off
	v_add_co_u32_e32 v0, vcc, s12, v0
	v_mov_b32_e32 v6, v3
	v_addc_co_u32_e32 v1, vcc, v1, v72, vcc
	v_mad_u64_u32 v[6:7], s[18:19], s1, v10, v[6:7]
	global_load_dwordx4 v[44:47], v[0:1], off
	v_add_co_u32_e32 v0, vcc, s12, v0
	v_mov_b32_e32 v3, v6
	v_addc_co_u32_e32 v1, vcc, v1, v72, vcc
	v_lshlrev_b64 v[2:3], 4, v[2:3]
	v_add_co_u32_e32 v2, vcc, v70, v2
	v_addc_co_u32_e32 v3, vcc, v71, v3, vcc
	global_load_dwordx4 v[48:51], v[0:1], off
	global_load_dwordx4 v[52:55], v[2:3], off
	v_lshlrev_b32_e32 v2, 4, v10
	v_mad_u64_u32 v[0:1], s[0:1], s0, v73, v[0:1]
	buffer_store_dword v10, off, s[24:27], 0 offset:52 ; 4-byte Folded Spill
	buffer_store_dword v2, off, s[24:27], 0 offset:388 ; 4-byte Folded Spill
	v_add_u32_e32 v1, s16, v1
	global_load_dwordx4 v[152:155], v2, s[6:7]
	global_load_dwordx4 v[68:71], v[0:1], off
	global_load_dwordx4 v[128:131], v[64:65], off offset:3456
	v_add_co_u32_e32 v0, vcc, s12, v0
	v_addc_co_u32_e32 v1, vcc, v1, v72, vcc
	global_load_dwordx4 v[74:77], v[0:1], off
	global_load_dwordx4 v[124:127], v[58:59], off offset:2816
	v_add_co_u32_e32 v0, vcc, s12, v0
	v_addc_co_u32_e32 v1, vcc, v1, v72, vcc
	global_load_dwordx4 v[78:81], v[0:1], off
	v_add_co_u32_e32 v0, vcc, s12, v0
	v_addc_co_u32_e32 v1, vcc, v1, v72, vcc
	global_load_dwordx4 v[82:85], v[0:1], off
	global_load_dwordx4 v[116:119], v[4:5], off offset:1536
	v_add_co_u32_e32 v0, vcc, s12, v0
	v_addc_co_u32_e32 v1, vcc, v1, v72, vcc
	global_load_dwordx4 v[86:89], v[0:1], off
	v_add_co_u32_e32 v0, vcc, s12, v0
	v_addc_co_u32_e32 v1, vcc, v1, v72, vcc
	s_mov_b32 s0, 0x8000
	v_add_co_u32_e32 v6, vcc, s0, v94
	v_addc_co_u32_e32 v7, vcc, 0, v95, vcc
	global_load_dwordx4 v[90:93], v[0:1], off
	global_load_dwordx4 v[120:123], v[6:7], off offset:256
	v_mul_f64 v[2:3], v[20:21], v[134:135]
	buffer_store_dword v132, off, s[24:27], 0 offset:496 ; 4-byte Folded Spill
	s_nop 0
	buffer_store_dword v133, off, s[24:27], 0 offset:500 ; 4-byte Folded Spill
	buffer_store_dword v134, off, s[24:27], 0 offset:504 ; 4-byte Folded Spill
	;; [unrolled: 1-line block ×3, first 2 shown]
	v_cmp_gt_u16_e32 vcc, 36, v204
	v_fma_f64 v[10:11], v[22:23], v[132:133], -v[2:3]
	ds_write_b128 v164, v[8:11] offset:11328
	s_waitcnt vmcnt(28)
	v_mul_f64 v[8:9], v[14:15], v[150:151]
	v_fmac_f64_e32 v[8:9], v[12:13], v[148:149]
	v_mul_f64 v[2:3], v[12:13], v[150:151]
	buffer_store_dword v148, off, s[24:27], 0 offset:480 ; 4-byte Folded Spill
	s_nop 0
	buffer_store_dword v149, off, s[24:27], 0 offset:484 ; 4-byte Folded Spill
	buffer_store_dword v150, off, s[24:27], 0 offset:488 ; 4-byte Folded Spill
	buffer_store_dword v151, off, s[24:27], 0 offset:492 ; 4-byte Folded Spill
	v_fma_f64 v[10:11], v[14:15], v[148:149], -v[2:3]
	ds_write_b128 v164, v[8:11] offset:14784
	s_waitcnt vmcnt(31)
	v_mul_f64 v[8:9], v[18:19], v[146:147]
	v_fmac_f64_e32 v[8:9], v[16:17], v[144:145]
	v_mul_f64 v[2:3], v[16:17], v[146:147]
	buffer_store_dword v144, off, s[24:27], 0 offset:464 ; 4-byte Folded Spill
	s_nop 0
	buffer_store_dword v145, off, s[24:27], 0 offset:468 ; 4-byte Folded Spill
	buffer_store_dword v146, off, s[24:27], 0 offset:472 ; 4-byte Folded Spill
	buffer_store_dword v147, off, s[24:27], 0 offset:476 ; 4-byte Folded Spill
	;; [unrolled: 11-line block ×16, first 2 shown]
	v_fma_f64 v[10:11], v[92:93], v[120:121], -v[2:3]
	ds_write_b128 v164, v[8:11] offset:33024
	s_and_saveexec_b64 s[16:17], vcc
	s_cbranch_execz .LBB0_3
; %bb.2:
	v_mov_b32_e32 v2, s15
	v_add_co_u32_e64 v8, s[0:1], s14, v0
	v_addc_co_u32_e64 v9, s[0:1], v1, v2, s[0:1]
	v_mov_b32_e32 v77, s13
	v_add_co_u32_e64 v20, s[0:1], s12, v8
	v_addc_co_u32_e64 v21, s[0:1], v9, v77, s[0:1]
	v_add_co_u32_e64 v24, s[0:1], s12, v20
	v_addc_co_u32_e64 v25, s[0:1], v21, v77, s[0:1]
	v_accvgpr_read_b32 v13, a1
	v_add_co_u32_e64 v36, s[0:1], s12, v24
	global_load_dwordx4 v[0:3], v[8:9], off
	v_accvgpr_read_b32 v12, a0
	v_addc_co_u32_e64 v37, s[0:1], v25, v77, s[0:1]
	global_load_dwordx4 v[8:11], v[20:21], off
	s_nop 0
	global_load_dwordx4 v[12:15], v[12:13], off offset:2880
	s_nop 0
	global_load_dwordx4 v[16:19], v[62:63], off offset:2240
	v_add_co_u32_e64 v40, s[0:1], s12, v36
	v_addc_co_u32_e64 v41, s[0:1], v37, v77, s[0:1]
	global_load_dwordx4 v[20:23], v[24:25], off
	s_nop 0
	global_load_dwordx4 v[24:27], v[36:37], off
	global_load_dwordx4 v[28:31], v[56:57], off offset:1600
	global_load_dwordx4 v[32:35], v[64:65], off offset:960
	v_add_co_u32_e64 v52, s[0:1], s12, v40
	v_addc_co_u32_e64 v53, s[0:1], v41, v77, s[0:1]
	global_load_dwordx4 v[36:39], v[40:41], off
	s_nop 0
	global_load_dwordx4 v[40:43], v[58:59], off offset:320
	global_load_dwordx4 v[44:47], v[52:53], off
	global_load_dwordx4 v[48:51], v[58:59], off offset:3776
	v_add_co_u32_e64 v62, s[0:1], s12, v52
	v_addc_co_u32_e64 v63, s[0:1], v53, v77, s[0:1]
	global_load_dwordx4 v[52:55], v[62:63], off
	global_load_dwordx4 v[56:59], v[60:61], off offset:3136
	v_add_co_u32_e64 v64, s[0:1], s12, v62
	v_addc_co_u32_e64 v65, s[0:1], v63, v77, s[0:1]
	;; [unrolled: 4-line block ×3, first 2 shown]
	global_load_dwordx4 v[72:75], v[4:5], off
	s_nop 0
	global_load_dwordx4 v[64:67], v[66:67], off offset:1856
	v_add_co_u32_e64 v76, s[0:1], s12, v4
	v_addc_co_u32_e64 v77, s[0:1], v5, v77, s[0:1]
	global_load_dwordx4 v[4:7], v[6:7], off offset:1216
	s_nop 0
	global_load_dwordx4 v[76:79], v[76:77], off
	s_waitcnt vmcnt(17)
	v_mul_f64 v[80:81], v[2:3], v[14:15]
	v_mul_f64 v[14:15], v[0:1], v[14:15]
	v_fmac_f64_e32 v[80:81], v[0:1], v[12:13]
	v_fma_f64 v[82:83], v[2:3], v[12:13], -v[14:15]
	s_waitcnt vmcnt(16)
	v_mul_f64 v[0:1], v[10:11], v[18:19]
	v_mul_f64 v[2:3], v[8:9], v[18:19]
	v_fmac_f64_e32 v[0:1], v[8:9], v[16:17]
	v_fma_f64 v[2:3], v[10:11], v[16:17], -v[2:3]
	ds_write_b128 v164, v[0:3] offset:6336
	s_waitcnt vmcnt(12)
	v_mul_f64 v[0:1], v[26:27], v[34:35]
	v_mul_f64 v[2:3], v[24:25], v[34:35]
	v_fmac_f64_e32 v[0:1], v[24:25], v[32:33]
	v_fma_f64 v[2:3], v[26:27], v[32:33], -v[2:3]
	ds_write_b128 v164, v[0:3] offset:13248
	;; [unrolled: 6-line block ×4, first 2 shown]
	s_waitcnt vmcnt(4)
	v_mul_f64 v[0:1], v[62:63], v[70:71]
	v_mul_f64 v[2:3], v[60:61], v[70:71]
	v_fmac_f64_e32 v[0:1], v[60:61], v[68:69]
	v_fma_f64 v[2:3], v[62:63], v[68:69], -v[2:3]
	v_mul_f64 v[8:9], v[22:23], v[30:31]
	v_mul_f64 v[10:11], v[20:21], v[30:31]
	ds_write_b128 v164, v[0:3] offset:27072
	s_waitcnt vmcnt(2)
	v_mul_f64 v[0:1], v[74:75], v[66:67]
	v_mul_f64 v[2:3], v[72:73], v[66:67]
	v_fmac_f64_e32 v[8:9], v[20:21], v[28:29]
	v_fma_f64 v[10:11], v[22:23], v[28:29], -v[10:11]
	v_fmac_f64_e32 v[0:1], v[72:73], v[64:65]
	v_fma_f64 v[2:3], v[74:75], v[64:65], -v[2:3]
	ds_write_b128 v164, v[8:11] offset:9792
	v_mul_f64 v[8:9], v[38:39], v[42:43]
	v_mul_f64 v[10:11], v[36:37], v[42:43]
	ds_write_b128 v164, v[0:3] offset:30528
	s_waitcnt vmcnt(0)
	v_mul_f64 v[0:1], v[78:79], v[6:7]
	v_mul_f64 v[2:3], v[76:77], v[6:7]
	v_fmac_f64_e32 v[8:9], v[36:37], v[40:41]
	v_fma_f64 v[10:11], v[38:39], v[40:41], -v[10:11]
	v_fmac_f64_e32 v[0:1], v[76:77], v[4:5]
	v_fma_f64 v[2:3], v[78:79], v[4:5], -v[2:3]
	ds_write_b128 v164, v[80:83] offset:2880
	ds_write_b128 v164, v[8:11] offset:16704
	ds_write_b128 v164, v[0:3] offset:33984
.LBB0_3:
	s_or_b64 exec, exec, s[16:17]
	s_waitcnt lgkmcnt(0)
	; wave barrier
	s_waitcnt lgkmcnt(0)
	ds_read_b128 v[140:143], v164 offset:3456
	ds_read_b128 v[84:87], v164 offset:4416
	;; [unrolled: 1-line block ×28, first 2 shown]
	ds_read_b128 v[144:147], v164
	ds_read_b128 v[60:63], v164 offset:33024
	s_load_dwordx2 s[14:15], s[4:5], 0x8
                                        ; implicit-def: $vgpr28_vgpr29
                                        ; implicit-def: $vgpr0_vgpr1
                                        ; implicit-def: $vgpr4_vgpr5
                                        ; implicit-def: $vgpr8_vgpr9
                                        ; implicit-def: $vgpr12_vgpr13
                                        ; implicit-def: $vgpr16_vgpr17
                                        ; implicit-def: $vgpr20_vgpr21
                                        ; implicit-def: $vgpr24_vgpr25
                                        ; implicit-def: $vgpr32_vgpr33
                                        ; implicit-def: $vgpr36_vgpr37
	s_and_saveexec_b64 s[0:1], vcc
	s_cbranch_execz .LBB0_5
; %bb.4:
	ds_read_b128 v[0:3], v164 offset:6336
	ds_read_b128 v[4:7], v164 offset:9792
	;; [unrolled: 1-line block ×10, first 2 shown]
.LBB0_5:
	s_or_b64 exec, exec, s[0:1]
	v_add_co_u32_e64 v168, s[0:1], 60, v204
	s_movk_i32 s0, 0x78
	v_add_co_u32_e64 v228, s[0:1], s0, v204
	s_movk_i32 s0, 0xb4
	v_add_co_u32_e64 v169, s[0:1], s0, v204
	s_waitcnt lgkmcnt(0)
	v_add_f64 v[162:163], v[148:149], v[152:153]
	s_mov_b32 s0, 0x134454ff
	v_fma_f64 v[162:163], -0.5, v[162:163], v[144:145]
	v_add_f64 v[166:167], v[138:139], -v[158:159]
	s_mov_b32 s1, 0x3fee6f0e
	s_mov_b32 s4, 0x4755a5e
	;; [unrolled: 1-line block ×4, first 2 shown]
	v_fma_f64 v[170:171], s[0:1], v[166:167], v[162:163]
	v_add_f64 v[172:173], v[150:151], -v[154:155]
	s_mov_b32 s5, 0x3fe2cf23
	v_add_f64 v[174:175], v[136:137], -v[148:149]
	v_add_f64 v[176:177], v[156:157], -v[152:153]
	s_mov_b32 s12, 0x372fe950
	v_fmac_f64_e32 v[162:163], s[16:17], v[166:167]
	s_mov_b32 s19, 0xbfe2cf23
	s_mov_b32 s18, s4
	v_fmac_f64_e32 v[170:171], s[4:5], v[172:173]
	v_add_f64 v[174:175], v[174:175], v[176:177]
	s_mov_b32 s13, 0x3fd3c6ef
	v_fmac_f64_e32 v[162:163], s[18:19], v[172:173]
	v_fmac_f64_e32 v[170:171], s[12:13], v[174:175]
	;; [unrolled: 1-line block ×3, first 2 shown]
	v_add_f64 v[174:175], v[136:137], v[156:157]
	v_add_f64 v[160:161], v[144:145], v[136:137]
	v_fmac_f64_e32 v[144:145], -0.5, v[174:175]
	v_add_f64 v[160:161], v[160:161], v[148:149]
	v_fma_f64 v[174:175], s[16:17], v[172:173], v[144:145]
	v_add_f64 v[176:177], v[148:149], -v[136:137]
	v_add_f64 v[178:179], v[152:153], -v[156:157]
	v_fmac_f64_e32 v[144:145], s[0:1], v[172:173]
	v_add_f64 v[172:173], v[150:151], v[154:155]
	v_add_f64 v[160:161], v[160:161], v[152:153]
	v_fmac_f64_e32 v[174:175], s[4:5], v[166:167]
	v_add_f64 v[176:177], v[176:177], v[178:179]
	v_fmac_f64_e32 v[144:145], s[18:19], v[166:167]
	v_fma_f64 v[172:173], -0.5, v[172:173], v[146:147]
	v_add_f64 v[136:137], v[136:137], -v[156:157]
	v_add_f64 v[160:161], v[160:161], v[156:157]
	v_fmac_f64_e32 v[174:175], s[12:13], v[176:177]
	v_fmac_f64_e32 v[144:145], s[12:13], v[176:177]
	v_fma_f64 v[176:177], s[16:17], v[136:137], v[172:173]
	v_add_f64 v[148:149], v[148:149], -v[152:153]
	v_add_f64 v[152:153], v[138:139], -v[150:151]
	;; [unrolled: 1-line block ×3, first 2 shown]
	v_fmac_f64_e32 v[172:173], s[0:1], v[136:137]
	v_fmac_f64_e32 v[176:177], s[18:19], v[148:149]
	v_add_f64 v[152:153], v[152:153], v[156:157]
	v_fmac_f64_e32 v[172:173], s[4:5], v[148:149]
	v_fmac_f64_e32 v[176:177], s[12:13], v[152:153]
	;; [unrolled: 1-line block ×3, first 2 shown]
	v_add_f64 v[152:153], v[138:139], v[158:159]
	v_add_f64 v[166:167], v[146:147], v[138:139]
	v_fmac_f64_e32 v[146:147], -0.5, v[152:153]
	v_fma_f64 v[178:179], s[0:1], v[148:149], v[146:147]
	v_fmac_f64_e32 v[146:147], s[16:17], v[148:149]
	v_fmac_f64_e32 v[178:179], s[18:19], v[136:137]
	;; [unrolled: 1-line block ×3, first 2 shown]
	v_add_f64 v[136:137], v[140:141], v[120:121]
	v_add_f64 v[136:137], v[136:137], v[124:125]
	;; [unrolled: 1-line block ×4, first 2 shown]
	v_add_f64 v[138:139], v[150:151], -v[138:139]
	v_add_f64 v[150:151], v[154:155], -v[158:159]
	v_add_f64 v[148:149], v[136:137], v[132:133]
	v_add_f64 v[136:137], v[124:125], v[128:129]
	;; [unrolled: 1-line block ×3, first 2 shown]
	v_fma_f64 v[150:151], -0.5, v[136:137], v[140:141]
	v_add_f64 v[136:137], v[122:123], -v[134:135]
	v_add_f64 v[166:167], v[166:167], v[154:155]
	v_fmac_f64_e32 v[178:179], s[12:13], v[138:139]
	v_fmac_f64_e32 v[146:147], s[12:13], v[138:139]
	v_fma_f64 v[138:139], s[0:1], v[136:137], v[150:151]
	v_add_f64 v[152:153], v[126:127], -v[130:131]
	v_add_f64 v[154:155], v[120:121], -v[124:125]
	;; [unrolled: 1-line block ×3, first 2 shown]
	v_fmac_f64_e32 v[150:151], s[16:17], v[136:137]
	v_fmac_f64_e32 v[138:139], s[4:5], v[152:153]
	v_add_f64 v[154:155], v[154:155], v[156:157]
	v_fmac_f64_e32 v[150:151], s[18:19], v[152:153]
	v_fmac_f64_e32 v[138:139], s[12:13], v[154:155]
	;; [unrolled: 1-line block ×3, first 2 shown]
	v_add_f64 v[154:155], v[120:121], v[132:133]
	v_fmac_f64_e32 v[140:141], -0.5, v[154:155]
	v_fma_f64 v[154:155], s[16:17], v[152:153], v[140:141]
	v_fmac_f64_e32 v[140:141], s[0:1], v[152:153]
	v_fmac_f64_e32 v[154:155], s[4:5], v[136:137]
	;; [unrolled: 1-line block ×3, first 2 shown]
	v_add_f64 v[136:137], v[142:143], v[122:123]
	v_add_f64 v[136:137], v[136:137], v[126:127]
	;; [unrolled: 1-line block ×3, first 2 shown]
	v_add_f64 v[156:157], v[124:125], -v[120:121]
	v_add_f64 v[158:159], v[128:129], -v[132:133]
	v_add_f64 v[136:137], v[136:137], v[130:131]
	v_add_f64 v[156:157], v[156:157], v[158:159]
	;; [unrolled: 1-line block ×4, first 2 shown]
	v_fma_f64 v[152:153], -0.5, v[136:137], v[142:143]
	v_add_f64 v[120:121], v[120:121], -v[132:133]
	v_fmac_f64_e32 v[154:155], s[12:13], v[156:157]
	v_fmac_f64_e32 v[140:141], s[12:13], v[156:157]
	v_fma_f64 v[156:157], s[16:17], v[120:121], v[152:153]
	v_add_f64 v[124:125], v[124:125], -v[128:129]
	v_add_f64 v[128:129], v[122:123], -v[126:127]
	;; [unrolled: 1-line block ×3, first 2 shown]
	v_fmac_f64_e32 v[152:153], s[0:1], v[120:121]
	v_fmac_f64_e32 v[156:157], s[18:19], v[124:125]
	v_add_f64 v[128:129], v[128:129], v[132:133]
	v_fmac_f64_e32 v[152:153], s[4:5], v[124:125]
	v_fmac_f64_e32 v[156:157], s[12:13], v[128:129]
	v_fmac_f64_e32 v[152:153], s[12:13], v[128:129]
	v_add_f64 v[128:129], v[122:123], v[134:135]
	v_fmac_f64_e32 v[142:143], -0.5, v[128:129]
	v_fma_f64 v[180:181], s[0:1], v[124:125], v[142:143]
	v_add_f64 v[122:123], v[126:127], -v[122:123]
	v_add_f64 v[126:127], v[130:131], -v[134:135]
	v_fmac_f64_e32 v[142:143], s[16:17], v[124:125]
	v_fmac_f64_e32 v[180:181], s[18:19], v[120:121]
	v_add_f64 v[122:123], v[122:123], v[126:127]
	v_fmac_f64_e32 v[142:143], s[4:5], v[120:121]
	s_mov_b32 s20, 0x9b97f4a8
	v_fmac_f64_e32 v[180:181], s[12:13], v[122:123]
	v_fmac_f64_e32 v[142:143], s[12:13], v[122:123]
	s_mov_b32 s21, 0x3fe9e377
	v_mul_f64 v[122:123], v[140:141], s[12:13]
	v_fma_f64 v[186:187], v[142:143], s[0:1], -v[122:123]
	v_mul_f64 v[122:123], v[150:151], s[20:21]
	v_fma_f64 v[188:189], v[152:153], s[4:5], -v[122:123]
	v_mul_f64 v[130:131], v[142:143], s[12:13]
	v_mul_f64 v[182:183], v[138:139], s[20:21]
	;; [unrolled: 1-line block ×3, first 2 shown]
	v_add_f64 v[128:129], v[162:163], v[188:189]
	v_mul_f64 v[190:191], v[138:139], s[18:19]
	v_mul_f64 v[192:193], v[154:155], s[16:17]
	v_fma_f64 v[142:143], v[140:141], s[16:17], -v[130:131]
	v_mul_f64 v[130:131], v[152:153], s[20:21]
	v_add_f64 v[140:141], v[162:163], -v[188:189]
	v_add_f64 v[162:163], v[108:109], v[112:113]
	v_fmac_f64_e32 v[182:183], s[4:5], v[156:157]
	v_fmac_f64_e32 v[184:185], s[12:13], v[154:155]
	v_add_f64 v[122:123], v[166:167], v[158:159]
	v_fmac_f64_e32 v[190:191], s[20:21], v[156:157]
	v_fmac_f64_e32 v[192:193], s[12:13], v[180:181]
	v_fma_f64 v[180:181], v[150:151], s[18:19], -v[130:131]
	v_add_f64 v[158:159], v[166:167], -v[158:159]
	v_fma_f64 v[162:163], -0.5, v[162:163], v[80:81]
	v_add_f64 v[166:167], v[106:107], -v[118:119]
	v_add_f64 v[120:121], v[160:161], v[148:149]
	v_add_f64 v[124:125], v[170:171], v[182:183]
	;; [unrolled: 1-line block ×6, first 2 shown]
	v_add_f64 v[156:157], v[160:161], -v[148:149]
	v_add_f64 v[152:153], v[170:171], -v[182:183]
	;; [unrolled: 1-line block ×6, first 2 shown]
	v_fma_f64 v[170:171], s[0:1], v[166:167], v[162:163]
	v_add_f64 v[172:173], v[110:111], -v[114:115]
	v_add_f64 v[174:175], v[104:105], -v[108:109]
	v_add_f64 v[176:177], v[116:117], -v[112:113]
	v_fmac_f64_e32 v[162:163], s[16:17], v[166:167]
	v_fmac_f64_e32 v[170:171], s[4:5], v[172:173]
	v_add_f64 v[174:175], v[174:175], v[176:177]
	v_fmac_f64_e32 v[162:163], s[18:19], v[172:173]
	v_fmac_f64_e32 v[170:171], s[12:13], v[174:175]
	;; [unrolled: 1-line block ×3, first 2 shown]
	v_add_f64 v[174:175], v[104:105], v[116:117]
	v_add_f64 v[160:161], v[80:81], v[104:105]
	v_fmac_f64_e32 v[80:81], -0.5, v[174:175]
	v_add_f64 v[138:139], v[178:179], v[192:193]
	v_add_f64 v[150:151], v[178:179], -v[192:193]
	v_add_f64 v[160:161], v[160:161], v[108:109]
	v_fma_f64 v[174:175], s[16:17], v[172:173], v[80:81]
	v_add_f64 v[176:177], v[108:109], -v[104:105]
	v_add_f64 v[178:179], v[112:113], -v[116:117]
	v_fmac_f64_e32 v[80:81], s[0:1], v[172:173]
	v_add_f64 v[172:173], v[110:111], v[114:115]
	v_add_f64 v[160:161], v[160:161], v[112:113]
	v_fmac_f64_e32 v[174:175], s[4:5], v[166:167]
	v_add_f64 v[176:177], v[176:177], v[178:179]
	v_fmac_f64_e32 v[80:81], s[18:19], v[166:167]
	v_fma_f64 v[172:173], -0.5, v[172:173], v[82:83]
	v_add_f64 v[104:105], v[104:105], -v[116:117]
	v_add_f64 v[160:161], v[160:161], v[116:117]
	v_fmac_f64_e32 v[174:175], s[12:13], v[176:177]
	v_fmac_f64_e32 v[80:81], s[12:13], v[176:177]
	v_fma_f64 v[176:177], s[16:17], v[104:105], v[172:173]
	v_add_f64 v[108:109], v[108:109], -v[112:113]
	v_add_f64 v[112:113], v[106:107], -v[110:111]
	;; [unrolled: 1-line block ×3, first 2 shown]
	v_fmac_f64_e32 v[172:173], s[0:1], v[104:105]
	v_fmac_f64_e32 v[176:177], s[18:19], v[108:109]
	v_add_f64 v[112:113], v[112:113], v[116:117]
	v_fmac_f64_e32 v[172:173], s[4:5], v[108:109]
	v_fmac_f64_e32 v[176:177], s[12:13], v[112:113]
	v_fmac_f64_e32 v[172:173], s[12:13], v[112:113]
	v_add_f64 v[112:113], v[106:107], v[118:119]
	v_add_f64 v[166:167], v[82:83], v[106:107]
	v_fmac_f64_e32 v[82:83], -0.5, v[112:113]
	v_fma_f64 v[178:179], s[0:1], v[108:109], v[82:83]
	v_fmac_f64_e32 v[82:83], s[16:17], v[108:109]
	v_fmac_f64_e32 v[178:179], s[18:19], v[104:105]
	;; [unrolled: 1-line block ×3, first 2 shown]
	v_add_f64 v[104:105], v[84:85], v[88:89]
	v_add_f64 v[104:105], v[104:105], v[92:93]
	;; [unrolled: 1-line block ×4, first 2 shown]
	v_add_f64 v[106:107], v[110:111], -v[106:107]
	v_add_f64 v[110:111], v[114:115], -v[118:119]
	v_add_f64 v[108:109], v[104:105], v[100:101]
	v_add_f64 v[104:105], v[92:93], v[96:97]
	;; [unrolled: 1-line block ×3, first 2 shown]
	v_fma_f64 v[110:111], -0.5, v[104:105], v[84:85]
	v_add_f64 v[104:105], v[90:91], -v[102:103]
	v_add_f64 v[166:167], v[166:167], v[114:115]
	v_fmac_f64_e32 v[178:179], s[12:13], v[106:107]
	v_fmac_f64_e32 v[82:83], s[12:13], v[106:107]
	v_fma_f64 v[106:107], s[0:1], v[104:105], v[110:111]
	v_add_f64 v[112:113], v[94:95], -v[98:99]
	v_add_f64 v[114:115], v[88:89], -v[92:93]
	;; [unrolled: 1-line block ×3, first 2 shown]
	v_fmac_f64_e32 v[110:111], s[16:17], v[104:105]
	v_fmac_f64_e32 v[106:107], s[4:5], v[112:113]
	v_add_f64 v[114:115], v[114:115], v[116:117]
	v_fmac_f64_e32 v[110:111], s[18:19], v[112:113]
	v_fmac_f64_e32 v[106:107], s[12:13], v[114:115]
	;; [unrolled: 1-line block ×3, first 2 shown]
	v_add_f64 v[114:115], v[88:89], v[100:101]
	v_fmac_f64_e32 v[84:85], -0.5, v[114:115]
	v_fma_f64 v[114:115], s[16:17], v[112:113], v[84:85]
	v_fmac_f64_e32 v[84:85], s[0:1], v[112:113]
	v_fmac_f64_e32 v[114:115], s[4:5], v[104:105]
	;; [unrolled: 1-line block ×3, first 2 shown]
	v_add_f64 v[104:105], v[86:87], v[90:91]
	v_add_f64 v[104:105], v[104:105], v[94:95]
	;; [unrolled: 1-line block ×3, first 2 shown]
	v_add_f64 v[116:117], v[92:93], -v[88:89]
	v_add_f64 v[118:119], v[96:97], -v[100:101]
	v_add_f64 v[104:105], v[104:105], v[98:99]
	v_add_f64 v[116:117], v[116:117], v[118:119]
	;; [unrolled: 1-line block ×4, first 2 shown]
	v_fma_f64 v[112:113], -0.5, v[104:105], v[86:87]
	v_add_f64 v[88:89], v[88:89], -v[100:101]
	v_fmac_f64_e32 v[114:115], s[12:13], v[116:117]
	v_fmac_f64_e32 v[84:85], s[12:13], v[116:117]
	v_fma_f64 v[116:117], s[16:17], v[88:89], v[112:113]
	v_add_f64 v[92:93], v[92:93], -v[96:97]
	v_add_f64 v[96:97], v[90:91], -v[94:95]
	;; [unrolled: 1-line block ×3, first 2 shown]
	v_fmac_f64_e32 v[112:113], s[0:1], v[88:89]
	v_fmac_f64_e32 v[116:117], s[18:19], v[92:93]
	v_add_f64 v[96:97], v[96:97], v[100:101]
	v_fmac_f64_e32 v[112:113], s[4:5], v[92:93]
	v_fmac_f64_e32 v[116:117], s[12:13], v[96:97]
	;; [unrolled: 1-line block ×3, first 2 shown]
	v_add_f64 v[96:97], v[90:91], v[102:103]
	v_fmac_f64_e32 v[86:87], -0.5, v[96:97]
	v_fma_f64 v[180:181], s[0:1], v[92:93], v[86:87]
	v_add_f64 v[90:91], v[94:95], -v[90:91]
	v_add_f64 v[94:95], v[98:99], -v[102:103]
	v_fmac_f64_e32 v[86:87], s[16:17], v[92:93]
	v_fmac_f64_e32 v[180:181], s[18:19], v[88:89]
	v_add_f64 v[90:91], v[90:91], v[94:95]
	v_fmac_f64_e32 v[86:87], s[4:5], v[88:89]
	v_fmac_f64_e32 v[180:181], s[12:13], v[90:91]
	;; [unrolled: 1-line block ×3, first 2 shown]
	v_mul_f64 v[90:91], v[84:85], s[12:13]
	v_add_f64 v[132:133], v[144:145], v[186:187]
	v_add_f64 v[144:145], v[144:145], -v[186:187]
	v_fma_f64 v[186:187], v[86:87], s[0:1], -v[90:91]
	v_mul_f64 v[90:91], v[110:111], s[20:21]
	v_mul_f64 v[86:87], v[86:87], s[12:13]
	v_fma_f64 v[188:189], v[112:113], s[4:5], -v[90:91]
	v_mul_f64 v[192:193], v[114:115], s[16:17]
	v_fma_f64 v[86:87], v[84:85], s[16:17], -v[86:87]
	v_mul_f64 v[84:85], v[112:113], s[20:21]
	v_mul_f64 v[182:183], v[106:107], s[20:21]
	;; [unrolled: 1-line block ×3, first 2 shown]
	v_add_f64 v[100:101], v[80:81], v[186:187]
	v_add_f64 v[96:97], v[162:163], v[188:189]
	v_mul_f64 v[190:191], v[106:107], s[18:19]
	v_fmac_f64_e32 v[192:193], s[12:13], v[180:181]
	v_fma_f64 v[180:181], v[110:111], s[18:19], -v[84:85]
	v_add_f64 v[84:85], v[80:81], -v[186:187]
	v_add_f64 v[80:81], v[162:163], -v[188:189]
	v_add_f64 v[162:163], v[68:69], v[72:73]
	v_fmac_f64_e32 v[182:183], s[4:5], v[116:117]
	v_fmac_f64_e32 v[184:185], s[12:13], v[114:115]
	v_add_f64 v[90:91], v[166:167], v[118:119]
	v_fmac_f64_e32 v[190:191], s[20:21], v[116:117]
	v_add_f64 v[118:119], v[166:167], -v[118:119]
	v_fma_f64 v[162:163], -0.5, v[162:163], v[40:41]
	v_add_f64 v[166:167], v[66:67], -v[78:79]
	v_add_f64 v[88:89], v[160:161], v[108:109]
	v_add_f64 v[92:93], v[170:171], v[182:183]
	;; [unrolled: 1-line block ×6, first 2 shown]
	v_add_f64 v[116:117], v[160:161], -v[108:109]
	v_add_f64 v[112:113], v[170:171], -v[182:183]
	;; [unrolled: 1-line block ×6, first 2 shown]
	v_fma_f64 v[170:171], s[0:1], v[166:167], v[162:163]
	v_add_f64 v[172:173], v[70:71], -v[74:75]
	v_add_f64 v[174:175], v[64:65], -v[68:69]
	v_add_f64 v[176:177], v[76:77], -v[72:73]
	v_fmac_f64_e32 v[162:163], s[16:17], v[166:167]
	v_fmac_f64_e32 v[170:171], s[4:5], v[172:173]
	v_add_f64 v[174:175], v[174:175], v[176:177]
	v_fmac_f64_e32 v[162:163], s[18:19], v[172:173]
	v_fmac_f64_e32 v[170:171], s[12:13], v[174:175]
	;; [unrolled: 1-line block ×3, first 2 shown]
	v_add_f64 v[174:175], v[64:65], v[76:77]
	v_add_f64 v[160:161], v[40:41], v[64:65]
	v_fmac_f64_e32 v[40:41], -0.5, v[174:175]
	v_add_f64 v[106:107], v[178:179], v[192:193]
	v_add_f64 v[110:111], v[178:179], -v[192:193]
	v_add_f64 v[160:161], v[160:161], v[68:69]
	v_fma_f64 v[174:175], s[16:17], v[172:173], v[40:41]
	v_add_f64 v[176:177], v[68:69], -v[64:65]
	v_add_f64 v[178:179], v[72:73], -v[76:77]
	v_fmac_f64_e32 v[40:41], s[0:1], v[172:173]
	v_add_f64 v[172:173], v[70:71], v[74:75]
	v_add_f64 v[160:161], v[160:161], v[72:73]
	v_fmac_f64_e32 v[174:175], s[4:5], v[166:167]
	v_add_f64 v[176:177], v[176:177], v[178:179]
	v_fmac_f64_e32 v[40:41], s[18:19], v[166:167]
	v_fma_f64 v[172:173], -0.5, v[172:173], v[42:43]
	v_add_f64 v[64:65], v[64:65], -v[76:77]
	v_add_f64 v[160:161], v[160:161], v[76:77]
	v_fmac_f64_e32 v[174:175], s[12:13], v[176:177]
	v_fmac_f64_e32 v[40:41], s[12:13], v[176:177]
	v_fma_f64 v[176:177], s[16:17], v[64:65], v[172:173]
	v_add_f64 v[68:69], v[68:69], -v[72:73]
	v_add_f64 v[72:73], v[66:67], -v[70:71]
	;; [unrolled: 1-line block ×3, first 2 shown]
	v_fmac_f64_e32 v[172:173], s[0:1], v[64:65]
	v_fmac_f64_e32 v[176:177], s[18:19], v[68:69]
	v_add_f64 v[72:73], v[72:73], v[76:77]
	v_fmac_f64_e32 v[172:173], s[4:5], v[68:69]
	v_fmac_f64_e32 v[176:177], s[12:13], v[72:73]
	;; [unrolled: 1-line block ×3, first 2 shown]
	v_add_f64 v[72:73], v[66:67], v[78:79]
	v_add_f64 v[166:167], v[42:43], v[66:67]
	v_fmac_f64_e32 v[42:43], -0.5, v[72:73]
	v_fma_f64 v[178:179], s[0:1], v[68:69], v[42:43]
	v_fmac_f64_e32 v[42:43], s[16:17], v[68:69]
	v_fmac_f64_e32 v[178:179], s[18:19], v[64:65]
	;; [unrolled: 1-line block ×3, first 2 shown]
	v_add_f64 v[64:65], v[44:45], v[48:49]
	v_add_f64 v[64:65], v[64:65], v[52:53]
	;; [unrolled: 1-line block ×4, first 2 shown]
	v_add_f64 v[66:67], v[70:71], -v[66:67]
	v_add_f64 v[70:71], v[74:75], -v[78:79]
	v_add_f64 v[68:69], v[64:65], v[60:61]
	v_add_f64 v[64:65], v[52:53], v[56:57]
	;; [unrolled: 1-line block ×3, first 2 shown]
	v_fma_f64 v[70:71], -0.5, v[64:65], v[44:45]
	v_add_f64 v[64:65], v[50:51], -v[62:63]
	v_add_f64 v[166:167], v[166:167], v[74:75]
	v_fmac_f64_e32 v[178:179], s[12:13], v[66:67]
	v_fmac_f64_e32 v[42:43], s[12:13], v[66:67]
	v_fma_f64 v[66:67], s[0:1], v[64:65], v[70:71]
	v_add_f64 v[72:73], v[54:55], -v[58:59]
	v_add_f64 v[74:75], v[48:49], -v[52:53]
	v_add_f64 v[76:77], v[60:61], -v[56:57]
	v_fmac_f64_e32 v[70:71], s[16:17], v[64:65]
	v_fmac_f64_e32 v[66:67], s[4:5], v[72:73]
	v_add_f64 v[74:75], v[74:75], v[76:77]
	v_fmac_f64_e32 v[70:71], s[18:19], v[72:73]
	v_fmac_f64_e32 v[66:67], s[12:13], v[74:75]
	;; [unrolled: 1-line block ×3, first 2 shown]
	v_add_f64 v[74:75], v[48:49], v[60:61]
	v_fmac_f64_e32 v[44:45], -0.5, v[74:75]
	v_fma_f64 v[74:75], s[16:17], v[72:73], v[44:45]
	v_fmac_f64_e32 v[44:45], s[0:1], v[72:73]
	v_fmac_f64_e32 v[74:75], s[4:5], v[64:65]
	;; [unrolled: 1-line block ×3, first 2 shown]
	v_add_f64 v[64:65], v[46:47], v[50:51]
	v_add_f64 v[64:65], v[64:65], v[54:55]
	;; [unrolled: 1-line block ×3, first 2 shown]
	v_add_f64 v[76:77], v[52:53], -v[48:49]
	v_add_f64 v[78:79], v[56:57], -v[60:61]
	v_add_f64 v[64:65], v[64:65], v[58:59]
	v_add_f64 v[76:77], v[76:77], v[78:79]
	;; [unrolled: 1-line block ×4, first 2 shown]
	v_fma_f64 v[72:73], -0.5, v[64:65], v[46:47]
	v_add_f64 v[48:49], v[48:49], -v[60:61]
	v_fmac_f64_e32 v[74:75], s[12:13], v[76:77]
	v_fmac_f64_e32 v[44:45], s[12:13], v[76:77]
	v_fma_f64 v[76:77], s[16:17], v[48:49], v[72:73]
	v_add_f64 v[52:53], v[52:53], -v[56:57]
	v_add_f64 v[56:57], v[50:51], -v[54:55]
	;; [unrolled: 1-line block ×3, first 2 shown]
	v_fmac_f64_e32 v[72:73], s[0:1], v[48:49]
	v_fmac_f64_e32 v[76:77], s[18:19], v[52:53]
	v_add_f64 v[56:57], v[56:57], v[60:61]
	v_fmac_f64_e32 v[72:73], s[4:5], v[52:53]
	v_fmac_f64_e32 v[76:77], s[12:13], v[56:57]
	;; [unrolled: 1-line block ×3, first 2 shown]
	v_add_f64 v[56:57], v[50:51], v[62:63]
	v_fmac_f64_e32 v[46:47], -0.5, v[56:57]
	v_fma_f64 v[180:181], s[0:1], v[52:53], v[46:47]
	v_add_f64 v[50:51], v[54:55], -v[50:51]
	v_add_f64 v[54:55], v[58:59], -v[62:63]
	v_fmac_f64_e32 v[46:47], s[16:17], v[52:53]
	v_fmac_f64_e32 v[180:181], s[18:19], v[48:49]
	v_add_f64 v[50:51], v[50:51], v[54:55]
	v_fmac_f64_e32 v[46:47], s[4:5], v[48:49]
	v_fmac_f64_e32 v[180:181], s[12:13], v[50:51]
	v_fmac_f64_e32 v[46:47], s[12:13], v[50:51]
	v_mul_f64 v[50:51], v[44:45], s[12:13]
	v_fma_f64 v[186:187], v[46:47], s[0:1], -v[50:51]
	v_mul_f64 v[46:47], v[46:47], s[12:13]
	v_mul_f64 v[182:183], v[66:67], s[20:21]
	;; [unrolled: 1-line block ×5, first 2 shown]
	v_fma_f64 v[46:47], v[44:45], s[16:17], -v[46:47]
	v_mul_f64 v[44:45], v[72:73], s[20:21]
	v_add_f64 v[48:49], v[160:161], v[68:69]
	v_fmac_f64_e32 v[182:183], s[4:5], v[76:77]
	v_mul_f64 v[184:185], v[180:181], s[0:1]
	v_fma_f64 v[188:189], v[72:73], s[4:5], -v[50:51]
	v_fmac_f64_e32 v[190:191], s[20:21], v[76:77]
	v_fmac_f64_e32 v[192:193], s[12:13], v[180:181]
	v_fma_f64 v[180:181], v[70:71], s[18:19], -v[44:45]
	v_add_f64 v[76:77], v[160:161], -v[68:69]
	v_add_f64 v[160:161], v[12:13], v[20:21]
	v_fmac_f64_e32 v[184:185], s[12:13], v[74:75]
	v_add_f64 v[60:61], v[40:41], v[186:187]
	v_add_f64 v[56:57], v[162:163], v[188:189]
	;; [unrolled: 1-line block ×4, first 2 shown]
	v_add_f64 v[44:45], v[40:41], -v[186:187]
	v_add_f64 v[40:41], v[162:163], -v[188:189]
	;; [unrolled: 1-line block ×4, first 2 shown]
	v_fma_f64 v[162:163], -0.5, v[160:161], v[28:29]
	v_add_f64 v[172:173], v[6:7], -v[34:35]
	v_add_f64 v[52:53], v[170:171], v[182:183]
	v_add_f64 v[64:65], v[174:175], v[184:185]
	;; [unrolled: 1-line block ×3, first 2 shown]
	v_add_f64 v[72:73], v[170:171], -v[182:183]
	v_add_f64 v[68:69], v[174:175], -v[184:185]
	;; [unrolled: 1-line block ×3, first 2 shown]
	v_fma_f64 v[160:161], s[0:1], v[172:173], v[162:163]
	v_add_f64 v[174:175], v[14:15], -v[22:23]
	v_add_f64 v[166:167], v[4:5], -v[12:13]
	;; [unrolled: 1-line block ×3, first 2 shown]
	v_fmac_f64_e32 v[162:163], s[16:17], v[172:173]
	v_fmac_f64_e32 v[160:161], s[4:5], v[174:175]
	v_add_f64 v[166:167], v[166:167], v[170:171]
	v_fmac_f64_e32 v[162:163], s[18:19], v[174:175]
	v_fmac_f64_e32 v[160:161], s[12:13], v[166:167]
	;; [unrolled: 1-line block ×3, first 2 shown]
	v_add_f64 v[166:167], v[4:5], v[32:33]
	v_fma_f64 v[170:171], -0.5, v[166:167], v[28:29]
	v_fma_f64 v[166:167], s[16:17], v[174:175], v[170:171]
	v_fmac_f64_e32 v[170:171], s[0:1], v[174:175]
	v_add_f64 v[54:55], v[176:177], v[190:191]
	v_add_f64 v[66:67], v[178:179], v[192:193]
	v_add_f64 v[74:75], v[176:177], -v[190:191]
	v_add_f64 v[70:71], v[178:179], -v[192:193]
	v_fmac_f64_e32 v[166:167], s[4:5], v[172:173]
	v_add_f64 v[176:177], v[12:13], -v[4:5]
	v_add_f64 v[178:179], v[20:21], -v[32:33]
	v_fmac_f64_e32 v[170:171], s[18:19], v[172:173]
	v_add_f64 v[172:173], v[14:15], v[22:23]
	v_add_f64 v[176:177], v[176:177], v[178:179]
	v_fma_f64 v[174:175], -0.5, v[172:173], v[30:31]
	v_add_f64 v[180:181], v[4:5], -v[32:33]
	v_fmac_f64_e32 v[166:167], s[12:13], v[176:177]
	v_fmac_f64_e32 v[170:171], s[12:13], v[176:177]
	v_fma_f64 v[172:173], s[16:17], v[180:181], v[174:175]
	v_add_f64 v[182:183], v[12:13], -v[20:21]
	v_add_f64 v[176:177], v[6:7], -v[14:15]
	;; [unrolled: 1-line block ×3, first 2 shown]
	v_fmac_f64_e32 v[174:175], s[0:1], v[180:181]
	v_fmac_f64_e32 v[172:173], s[18:19], v[182:183]
	v_add_f64 v[176:177], v[176:177], v[178:179]
	v_fmac_f64_e32 v[174:175], s[4:5], v[182:183]
	v_fmac_f64_e32 v[172:173], s[12:13], v[176:177]
	;; [unrolled: 1-line block ×3, first 2 shown]
	v_add_f64 v[176:177], v[6:7], v[34:35]
	v_fma_f64 v[178:179], -0.5, v[176:177], v[30:31]
	v_fma_f64 v[176:177], s[0:1], v[182:183], v[178:179]
	v_fmac_f64_e32 v[178:179], s[16:17], v[182:183]
	v_fmac_f64_e32 v[176:177], s[18:19], v[180:181]
	v_add_f64 v[184:185], v[14:15], -v[6:7]
	v_add_f64 v[186:187], v[22:23], -v[34:35]
	v_fmac_f64_e32 v[178:179], s[4:5], v[180:181]
	v_add_f64 v[180:181], v[16:17], v[24:25]
	v_add_f64 v[184:185], v[184:185], v[186:187]
	v_fma_f64 v[194:195], -0.5, v[180:181], v[0:1]
	v_add_f64 v[180:181], v[10:11], -v[38:39]
	v_fmac_f64_e32 v[176:177], s[12:13], v[184:185]
	v_fmac_f64_e32 v[178:179], s[12:13], v[184:185]
	v_fma_f64 v[188:189], s[0:1], v[180:181], v[194:195]
	v_add_f64 v[182:183], v[18:19], -v[26:27]
	v_add_f64 v[184:185], v[8:9], -v[16:17]
	;; [unrolled: 1-line block ×3, first 2 shown]
	v_fmac_f64_e32 v[194:195], s[16:17], v[180:181]
	v_fmac_f64_e32 v[188:189], s[4:5], v[182:183]
	v_add_f64 v[184:185], v[184:185], v[186:187]
	v_fmac_f64_e32 v[194:195], s[18:19], v[182:183]
	v_fmac_f64_e32 v[188:189], s[12:13], v[184:185]
	;; [unrolled: 1-line block ×3, first 2 shown]
	v_add_f64 v[184:185], v[8:9], v[36:37]
	v_fma_f64 v[192:193], -0.5, v[184:185], v[0:1]
	v_fma_f64 v[190:191], s[16:17], v[182:183], v[192:193]
	v_fmac_f64_e32 v[192:193], s[0:1], v[182:183]
	v_fmac_f64_e32 v[190:191], s[4:5], v[180:181]
	v_add_f64 v[184:185], v[16:17], -v[8:9]
	v_add_f64 v[186:187], v[24:25], -v[36:37]
	v_fmac_f64_e32 v[192:193], s[18:19], v[180:181]
	v_add_f64 v[180:181], v[18:19], v[26:27]
	v_add_f64 v[184:185], v[184:185], v[186:187]
	v_fma_f64 v[196:197], -0.5, v[180:181], v[2:3]
	v_add_f64 v[180:181], v[8:9], -v[36:37]
	v_fmac_f64_e32 v[190:191], s[12:13], v[184:185]
	v_fmac_f64_e32 v[192:193], s[12:13], v[184:185]
	v_fma_f64 v[198:199], s[16:17], v[180:181], v[196:197]
	v_add_f64 v[182:183], v[16:17], -v[24:25]
	v_add_f64 v[184:185], v[10:11], -v[18:19]
	v_add_f64 v[186:187], v[38:39], -v[26:27]
	v_fmac_f64_e32 v[196:197], s[0:1], v[180:181]
	v_fmac_f64_e32 v[198:199], s[18:19], v[182:183]
	v_add_f64 v[184:185], v[184:185], v[186:187]
	v_fmac_f64_e32 v[196:197], s[4:5], v[182:183]
	v_fmac_f64_e32 v[198:199], s[12:13], v[184:185]
	;; [unrolled: 1-line block ×3, first 2 shown]
	v_add_f64 v[184:185], v[10:11], v[38:39]
	v_fma_f64 v[200:201], -0.5, v[184:185], v[2:3]
	v_fma_f64 v[202:203], s[0:1], v[182:183], v[200:201]
	v_add_f64 v[184:185], v[18:19], -v[10:11]
	v_add_f64 v[186:187], v[26:27], -v[38:39]
	v_fmac_f64_e32 v[202:203], s[18:19], v[180:181]
	v_add_f64 v[184:185], v[184:185], v[186:187]
	v_fmac_f64_e32 v[200:201], s[16:17], v[182:183]
	v_mul_lo_u16_e32 v165, 10, v204
	v_fmac_f64_e32 v[202:203], s[12:13], v[184:185]
	v_fmac_f64_e32 v[200:201], s[4:5], v[180:181]
	v_lshlrev_b32_e32 v165, 4, v165
	v_fmac_f64_e32 v[200:201], s[12:13], v[184:185]
	v_mul_f64 v[180:181], v[188:189], s[20:21]
	v_mul_f64 v[182:183], v[202:203], s[0:1]
	;; [unrolled: 1-line block ×5, first 2 shown]
	s_waitcnt lgkmcnt(0)
	; wave barrier
	ds_write_b128 v165, v[120:123]
	ds_write_b128 v165, v[124:127] offset:16
	ds_write_b128 v165, v[136:139] offset:32
	;; [unrolled: 1-line block ×8, first 2 shown]
	v_mul_u32_u24_e32 v120, 10, v168
	v_fmac_f64_e32 v[180:181], s[4:5], v[198:199]
	v_fmac_f64_e32 v[182:183], s[12:13], v[190:191]
	v_fma_f64 v[184:185], v[200:201], s[0:1], -v[184:185]
	v_fma_f64 v[186:187], v[196:197], s[4:5], -v[186:187]
	v_fmac_f64_e32 v[188:189], s[20:21], v[198:199]
	v_mul_f64 v[190:191], v[190:191], s[16:17]
	v_mul_f64 v[198:199], v[200:201], s[12:13]
	;; [unrolled: 1-line block ×3, first 2 shown]
	v_lshlrev_b32_e32 v120, 4, v120
	v_fmac_f64_e32 v[190:191], s[12:13], v[202:203]
	v_fma_f64 v[192:193], v[192:193], s[16:17], -v[198:199]
	v_fma_f64 v[194:195], v[194:195], s[18:19], -v[196:197]
	v_add_f64 v[196:197], v[160:161], -v[180:181]
	v_add_f64 v[200:201], v[166:167], -v[182:183]
	v_add_f64 v[206:207], v[170:171], -v[184:185]
	v_add_f64 v[210:211], v[162:163], -v[186:187]
	buffer_store_dword v165, off, s[24:27], 0 offset:56 ; 4-byte Folded Spill
	ds_write_b128 v165, v[140:143] offset:144
	ds_write_b128 v120, v[88:91]
	ds_write_b128 v120, v[92:95] offset:16
	ds_write_b128 v120, v[104:107] offset:32
	;; [unrolled: 1-line block ×9, first 2 shown]
	v_mul_u32_u24_e32 v80, 10, v228
	v_add_f64 v[198:199], v[172:173], -v[188:189]
	v_accvgpr_write_b32 a126, v196
	v_add_f64 v[202:203], v[176:177], -v[190:191]
	v_accvgpr_write_b32 a130, v200
	;; [unrolled: 2-line block ×4, first 2 shown]
	v_lshlrev_b32_e32 v165, 4, v80
	v_accvgpr_write_b32 a127, v197
	v_accvgpr_write_b32 a128, v198
	;; [unrolled: 1-line block ×12, first 2 shown]
	buffer_store_dword v120, off, s[24:27], 0 offset:60 ; 4-byte Folded Spill
	ds_write_b128 v165, v[48:51]
	ds_write_b128 v165, v[52:55] offset:16
	ds_write_b128 v165, v[64:67] offset:32
	;; [unrolled: 1-line block ×9, first 2 shown]
	v_mul_u32_u24_e32 v40, 10, v169
	buffer_store_dword v40, off, s[24:27], 0 offset:768 ; 4-byte Folded Spill
	s_and_saveexec_b64 s[0:1], vcc
	s_cbranch_execz .LBB0_7
; %bb.6:
	v_add_f64 v[4:5], v[28:29], v[4:5]
	v_add_f64 v[0:1], v[0:1], v[8:9]
	;; [unrolled: 1-line block ×16, first 2 shown]
	v_add_f64 v[0:1], v[20:21], -v[24:25]
	v_add_f64 v[20:21], v[20:21], v[24:25]
	v_mul_u32_u24_e32 v24, 10, v169
	v_add_f64 v[2:3], v[22:23], -v[26:27]
	v_add_f64 v[22:23], v[22:23], v[26:27]
	v_lshlrev_b32_e32 v24, 4, v24
	v_add_f64 v[6:7], v[174:175], v[194:195]
	v_add_f64 v[10:11], v[178:179], v[192:193]
	v_add_f64 v[14:15], v[176:177], v[190:191]
	v_add_f64 v[18:19], v[172:173], v[188:189]
	v_add_f64 v[4:5], v[162:163], v[186:187]
	v_add_f64 v[8:9], v[170:171], v[184:185]
	v_add_f64 v[12:13], v[166:167], v[182:183]
	v_add_f64 v[16:17], v[160:161], v[180:181]
	ds_write_b128 v24, v[20:23]
	ds_write_b128 v24, v[16:19] offset:16
	ds_write_b128 v24, v[12:15] offset:32
	;; [unrolled: 1-line block ×9, first 2 shown]
.LBB0_7:
	s_or_b64 exec, exec, s[0:1]
	s_movk_i32 s0, 0xcd
	v_mul_lo_u16_sdwa v144, v204, s0 dst_sel:DWORD dst_unused:UNUSED_PAD src0_sel:BYTE_0 src1_sel:DWORD
	v_lshrrev_b16_e32 v210, 11, v144
	v_mul_lo_u16_e32 v144, 10, v210
	v_sub_u16_e32 v144, v204, v144
	s_add_u32 s4, s6, 0x8700
	v_and_b32_e32 v211, 0xff, v144
	s_movk_i32 s16, 0x50
	v_pk_mov_b32 v[170:171], s[14:15], s[14:15] op_sel:[0,1]
	s_addc_u32 s5, s7, 0
	v_mad_u64_u32 v[146:147], s[6:7], v211, s16, v[170:171]
	s_waitcnt lgkmcnt(0)
	; wave barrier
	s_waitcnt lgkmcnt(0)
	ds_read_b128 v[20:23], v164
	ds_read_b128 v[140:143], v164 offset:5760
	ds_read_b128 v[136:139], v164 offset:11520
	ds_read_b128 v[132:135], v164 offset:17280
	ds_read_b128 v[128:131], v164 offset:23040
	ds_read_b128 v[124:127], v164 offset:28800
	ds_read_b128 v[16:19], v164 offset:960
	ds_read_b128 v[120:123], v164 offset:6720
	ds_read_b128 v[116:119], v164 offset:12480
	ds_read_b128 v[112:115], v164 offset:18240
	ds_read_b128 v[108:111], v164 offset:24000
	ds_read_b128 v[104:107], v164 offset:29760
	ds_read_b128 v[12:15], v164 offset:1920
	ds_read_b128 v[100:103], v164 offset:7680
	ds_read_b128 v[96:99], v164 offset:13440
	ds_read_b128 v[92:95], v164 offset:19200
	ds_read_b128 v[88:91], v164 offset:24960
	ds_read_b128 v[84:87], v164 offset:30720
	ds_read_b128 v[8:11], v164 offset:2880
	ds_read_b128 v[80:83], v164 offset:8640
	ds_read_b128 v[76:79], v164 offset:14400
	ds_read_b128 v[72:75], v164 offset:20160
	ds_read_b128 v[68:71], v164 offset:25920
	ds_read_b128 v[64:67], v164 offset:31680
	ds_read_b128 v[4:7], v164 offset:3840
	ds_read_b128 v[60:63], v164 offset:9600
	ds_read_b128 v[56:59], v164 offset:15360
	ds_read_b128 v[52:55], v164 offset:21120
	ds_read_b128 v[48:51], v164 offset:26880
	ds_read_b128 v[44:47], v164 offset:32640
	ds_read_b128 v[0:3], v164 offset:4800
	ds_read_b128 v[40:43], v164 offset:10560
	ds_read_b128 v[36:39], v164 offset:16320
	ds_read_b128 v[32:35], v164 offset:22080
	ds_read_b128 v[28:31], v164 offset:27840
	ds_read_b128 v[24:27], v164 offset:33600
	global_load_dwordx4 v[154:157], v[146:147], off offset:48
	global_load_dwordx4 v[172:175], v[146:147], off offset:32
	;; [unrolled: 1-line block ×3, first 2 shown]
	global_load_dwordx4 v[158:161], v[146:147], off
	v_add_u32_e32 v230, 0xf0, v204
	v_mov_b32_e32 v231, s15
	v_add_u32_e32 v229, 0x12c, v204
	v_mov_b32_e32 v222, v204
	s_mov_b32 s12, 0xe8584caa
	s_mov_b32 s13, 0x3febb67a
	v_accvgpr_write_b32 a2, v222
	s_movk_i32 s15, 0x89
	s_movk_i32 s17, 0x3000
	;; [unrolled: 1-line block ×3, first 2 shown]
	s_waitcnt vmcnt(3) lgkmcnt(14)
	v_mul_f64 v[166:167], v[128:129], v[156:157]
	s_waitcnt vmcnt(2)
	v_mul_f64 v[152:153], v[132:133], v[174:175]
	s_waitcnt vmcnt(0)
	v_mul_f64 v[144:145], v[142:143], v[160:161]
	v_fma_f64 v[144:145], v[140:141], v[158:159], -v[144:145]
	v_mul_f64 v[140:141], v[140:141], v[160:161]
	buffer_store_dword v158, off, s[24:27], 0 offset:576 ; 4-byte Folded Spill
	s_nop 0
	buffer_store_dword v159, off, s[24:27], 0 offset:580 ; 4-byte Folded Spill
	buffer_store_dword v160, off, s[24:27], 0 offset:584 ; 4-byte Folded Spill
	;; [unrolled: 1-line block ×3, first 2 shown]
	v_mul_f64 v[160:161], v[136:137], v[150:151]
	v_fmac_f64_e32 v[140:141], v[142:143], v[158:159]
	v_mul_f64 v[142:143], v[138:139], v[150:151]
	v_fma_f64 v[158:159], v[136:137], v[148:149], -v[142:143]
	buffer_store_dword v148, off, s[24:27], 0 offset:560 ; 4-byte Folded Spill
	s_nop 0
	buffer_store_dword v149, off, s[24:27], 0 offset:564 ; 4-byte Folded Spill
	buffer_store_dword v150, off, s[24:27], 0 offset:568 ; 4-byte Folded Spill
	;; [unrolled: 1-line block ×3, first 2 shown]
	v_mul_f64 v[136:137], v[134:135], v[174:175]
	v_fma_f64 v[150:151], v[132:133], v[172:173], -v[136:137]
	v_mul_f64 v[132:133], v[130:131], v[156:157]
	buffer_store_dword v172, off, s[24:27], 0 offset:544 ; 4-byte Folded Spill
	s_nop 0
	buffer_store_dword v173, off, s[24:27], 0 offset:548 ; 4-byte Folded Spill
	buffer_store_dword v174, off, s[24:27], 0 offset:552 ; 4-byte Folded Spill
	;; [unrolled: 1-line block ×3, first 2 shown]
	v_fma_f64 v[162:163], v[128:129], v[154:155], -v[132:133]
	buffer_store_dword v154, off, s[24:27], 0 offset:528 ; 4-byte Folded Spill
	s_nop 0
	buffer_store_dword v155, off, s[24:27], 0 offset:532 ; 4-byte Folded Spill
	buffer_store_dword v156, off, s[24:27], 0 offset:536 ; 4-byte Folded Spill
	;; [unrolled: 1-line block ×3, first 2 shown]
	v_fmac_f64_e32 v[160:161], v[138:139], v[148:149]
	v_fmac_f64_e32 v[152:153], v[134:135], v[172:173]
	v_fmac_f64_e32 v[166:167], v[130:131], v[154:155]
	global_load_dwordx4 v[130:133], v[146:147], off offset:64
	s_waitcnt vmcnt(0)
	v_mul_f64 v[128:129], v[126:127], v[132:133]
	v_fma_f64 v[154:155], v[124:125], v[130:131], -v[128:129]
	v_mul_f64 v[156:157], v[124:125], v[132:133]
	buffer_store_dword v130, off, s[24:27], 0 offset:512 ; 4-byte Folded Spill
	s_nop 0
	buffer_store_dword v131, off, s[24:27], 0 offset:516 ; 4-byte Folded Spill
	buffer_store_dword v132, off, s[24:27], 0 offset:520 ; 4-byte Folded Spill
	;; [unrolled: 1-line block ×3, first 2 shown]
	v_mul_lo_u16_sdwa v124, v168, s0 dst_sel:DWORD dst_unused:UNUSED_PAD src0_sel:BYTE_0 src1_sel:DWORD
	v_lshrrev_b16_e32 v212, 11, v124
	v_mul_lo_u16_e32 v124, 10, v212
	v_sub_u16_e32 v124, v168, v124
	v_and_b32_e32 v213, 0xff, v124
	v_fmac_f64_e32 v[156:157], v[126:127], v[130:131]
	v_mad_u64_u32 v[126:127], s[6:7], v213, s16, v[170:171]
	global_load_dwordx4 v[128:131], v[126:127], off offset:48
	global_load_dwordx4 v[132:135], v[126:127], off offset:32
	;; [unrolled: 1-line block ×3, first 2 shown]
	global_load_dwordx4 v[146:149], v[126:127], off
	s_waitcnt vmcnt(1)
	v_mul_f64 v[172:173], v[116:117], v[138:139]
	s_waitcnt vmcnt(0)
	v_mul_f64 v[124:125], v[122:123], v[148:149]
	v_fma_f64 v[124:125], v[120:121], v[146:147], -v[124:125]
	v_mul_f64 v[120:121], v[120:121], v[148:149]
	buffer_store_dword v146, off, s[24:27], 0 offset:656 ; 4-byte Folded Spill
	s_nop 0
	buffer_store_dword v147, off, s[24:27], 0 offset:660 ; 4-byte Folded Spill
	buffer_store_dword v148, off, s[24:27], 0 offset:664 ; 4-byte Folded Spill
	;; [unrolled: 1-line block ×3, first 2 shown]
	v_fmac_f64_e32 v[120:121], v[122:123], v[146:147]
	v_mul_f64 v[122:123], v[118:119], v[138:139]
	v_fma_f64 v[122:123], v[116:117], v[136:137], -v[122:123]
	v_mul_f64 v[116:117], v[114:115], v[134:135]
	buffer_store_dword v136, off, s[24:27], 0 offset:640 ; 4-byte Folded Spill
	s_nop 0
	buffer_store_dword v137, off, s[24:27], 0 offset:644 ; 4-byte Folded Spill
	buffer_store_dword v138, off, s[24:27], 0 offset:648 ; 4-byte Folded Spill
	;; [unrolled: 1-line block ×3, first 2 shown]
	v_fma_f64 v[116:117], v[112:113], v[132:133], -v[116:117]
	v_mul_f64 v[112:113], v[112:113], v[134:135]
	buffer_store_dword v132, off, s[24:27], 0 offset:624 ; 4-byte Folded Spill
	s_nop 0
	buffer_store_dword v133, off, s[24:27], 0 offset:628 ; 4-byte Folded Spill
	buffer_store_dword v134, off, s[24:27], 0 offset:632 ; 4-byte Folded Spill
	;; [unrolled: 1-line block ×3, first 2 shown]
	v_fmac_f64_e32 v[172:173], v[118:119], v[136:137]
	v_mul_f64 v[118:119], v[108:109], v[130:131]
	v_fmac_f64_e32 v[112:113], v[114:115], v[132:133]
	v_mul_f64 v[114:115], v[110:111], v[130:131]
	v_fma_f64 v[114:115], v[108:109], v[128:129], -v[114:115]
	buffer_store_dword v128, off, s[24:27], 0 offset:608 ; 4-byte Folded Spill
	s_nop 0
	buffer_store_dword v129, off, s[24:27], 0 offset:612 ; 4-byte Folded Spill
	buffer_store_dword v130, off, s[24:27], 0 offset:616 ; 4-byte Folded Spill
	;; [unrolled: 1-line block ×3, first 2 shown]
	v_fmac_f64_e32 v[118:119], v[110:111], v[128:129]
	global_load_dwordx4 v[126:129], v[126:127], off offset:64
	s_waitcnt vmcnt(0)
	v_mul_f64 v[108:109], v[106:107], v[128:129]
	v_fma_f64 v[108:109], v[104:105], v[126:127], -v[108:109]
	v_mul_f64 v[110:111], v[104:105], v[128:129]
	buffer_store_dword v126, off, s[24:27], 0 offset:592 ; 4-byte Folded Spill
	s_nop 0
	buffer_store_dword v127, off, s[24:27], 0 offset:596 ; 4-byte Folded Spill
	buffer_store_dword v128, off, s[24:27], 0 offset:600 ; 4-byte Folded Spill
	;; [unrolled: 1-line block ×3, first 2 shown]
	v_mul_lo_u16_sdwa v104, v228, s0 dst_sel:DWORD dst_unused:UNUSED_PAD src0_sel:BYTE_0 src1_sel:DWORD
	v_lshrrev_b16_e32 v214, 11, v104
	v_mul_lo_u16_e32 v104, 10, v214
	v_sub_u16_e32 v104, v228, v104
	v_and_b32_e32 v215, 0xff, v104
	v_fmac_f64_e32 v[110:111], v[106:107], v[126:127]
	v_mad_u64_u32 v[126:127], s[6:7], v215, s16, v[170:171]
	global_load_dwordx4 v[128:131], v[126:127], off offset:48
	global_load_dwordx4 v[132:135], v[126:127], off offset:32
	;; [unrolled: 1-line block ×3, first 2 shown]
	global_load_dwordx4 v[146:149], v[126:127], off
	s_mov_b32 s6, 0xcccd
	s_mov_b32 s7, 0xbfebb67a
	s_waitcnt vmcnt(3)
	v_mul_f64 v[180:181], v[88:89], v[130:131]
	s_waitcnt vmcnt(1)
	v_mul_f64 v[106:107], v[96:97], v[138:139]
	;; [unrolled: 2-line block ×3, first 2 shown]
	v_fma_f64 v[104:105], v[100:101], v[146:147], -v[104:105]
	v_mul_f64 v[100:101], v[100:101], v[148:149]
	buffer_store_dword v146, off, s[24:27], 0 offset:736 ; 4-byte Folded Spill
	s_nop 0
	buffer_store_dword v147, off, s[24:27], 0 offset:740 ; 4-byte Folded Spill
	buffer_store_dword v148, off, s[24:27], 0 offset:744 ; 4-byte Folded Spill
	;; [unrolled: 1-line block ×3, first 2 shown]
	v_fmac_f64_e32 v[100:101], v[102:103], v[146:147]
	v_mul_f64 v[102:103], v[98:99], v[138:139]
	v_fma_f64 v[102:103], v[96:97], v[136:137], -v[102:103]
	buffer_store_dword v136, off, s[24:27], 0 offset:720 ; 4-byte Folded Spill
	s_nop 0
	buffer_store_dword v137, off, s[24:27], 0 offset:724 ; 4-byte Folded Spill
	buffer_store_dword v138, off, s[24:27], 0 offset:728 ; 4-byte Folded Spill
	;; [unrolled: 1-line block ×3, first 2 shown]
	v_mul_f64 v[96:97], v[94:95], v[134:135]
	v_fmac_f64_e32 v[106:107], v[98:99], v[136:137]
	v_fma_f64 v[98:99], v[92:93], v[132:133], -v[96:97]
	v_mul_f64 v[92:93], v[92:93], v[134:135]
	buffer_store_dword v132, off, s[24:27], 0 offset:704 ; 4-byte Folded Spill
	s_nop 0
	buffer_store_dword v133, off, s[24:27], 0 offset:708 ; 4-byte Folded Spill
	buffer_store_dword v134, off, s[24:27], 0 offset:712 ; 4-byte Folded Spill
	;; [unrolled: 1-line block ×3, first 2 shown]
	v_fmac_f64_e32 v[92:93], v[94:95], v[132:133]
	v_mul_f64 v[94:95], v[90:91], v[130:131]
	v_fma_f64 v[176:177], v[88:89], v[128:129], -v[94:95]
	buffer_store_dword v128, off, s[24:27], 0 offset:688 ; 4-byte Folded Spill
	s_nop 0
	buffer_store_dword v129, off, s[24:27], 0 offset:692 ; 4-byte Folded Spill
	buffer_store_dword v130, off, s[24:27], 0 offset:696 ; 4-byte Folded Spill
	buffer_store_dword v131, off, s[24:27], 0 offset:700 ; 4-byte Folded Spill
	global_load_dwordx4 v[94:97], v[126:127], off offset:64
	v_fmac_f64_e32 v[180:181], v[90:91], v[128:129]
	s_waitcnt vmcnt(0)
	v_mul_f64 v[88:89], v[86:87], v[96:97]
	v_fma_f64 v[88:89], v[84:85], v[94:95], -v[88:89]
	v_mul_f64 v[84:85], v[84:85], v[96:97]
	buffer_store_dword v94, off, s[24:27], 0 offset:672 ; 4-byte Folded Spill
	s_nop 0
	buffer_store_dword v95, off, s[24:27], 0 offset:676 ; 4-byte Folded Spill
	buffer_store_dword v96, off, s[24:27], 0 offset:680 ; 4-byte Folded Spill
	;; [unrolled: 1-line block ×3, first 2 shown]
	v_fmac_f64_e32 v[84:85], v[86:87], v[94:95]
	v_mul_lo_u16_sdwa v86, v169, s0 dst_sel:DWORD dst_unused:UNUSED_PAD src0_sel:BYTE_0 src1_sel:DWORD
	v_lshrrev_b16_e32 v216, 11, v86
	v_mul_lo_u16_e32 v86, 10, v216
	v_sub_u16_e32 v86, v169, v86
	v_and_b32_e32 v217, 0xff, v86
	v_mad_u64_u32 v[126:127], s[0:1], v217, s16, v[170:171]
	global_load_dwordx4 v[128:131], v[126:127], off offset:48
	global_load_dwordx4 v[132:135], v[126:127], off offset:32
	;; [unrolled: 1-line block ×3, first 2 shown]
	global_load_dwordx4 v[146:149], v[126:127], off
	s_waitcnt vmcnt(3) lgkmcnt(13)
	v_mul_f64 v[188:189], v[68:69], v[130:131]
	s_waitcnt vmcnt(2)
	v_mul_f64 v[90:91], v[72:73], v[134:135]
	s_waitcnt vmcnt(1)
	;; [unrolled: 2-line block ×3, first 2 shown]
	v_mul_f64 v[86:87], v[82:83], v[148:149]
	v_fma_f64 v[94:95], v[80:81], v[146:147], -v[86:87]
	v_mul_f64 v[96:97], v[80:81], v[148:149]
	v_mul_f64 v[80:81], v[78:79], v[138:139]
	v_fma_f64 v[182:183], v[76:77], v[136:137], -v[80:81]
	v_mul_f64 v[76:77], v[74:75], v[134:135]
	v_fma_f64 v[86:87], v[72:73], v[132:133], -v[76:77]
	;; [unrolled: 2-line block ×3, first 2 shown]
	buffer_store_dword v128, off, s[24:27], 0 offset:752 ; 4-byte Folded Spill
	s_nop 0
	buffer_store_dword v129, off, s[24:27], 0 offset:756 ; 4-byte Folded Spill
	buffer_store_dword v130, off, s[24:27], 0 offset:760 ; 4-byte Folded Spill
	buffer_store_dword v131, off, s[24:27], 0 offset:764 ; 4-byte Folded Spill
	v_fmac_f64_e32 v[96:97], v[82:83], v[146:147]
	v_fmac_f64_e32 v[184:185], v[78:79], v[136:137]
	;; [unrolled: 1-line block ×3, first 2 shown]
	v_accvgpr_write_b32 a217, v139
	v_accvgpr_write_b32 a213, v135
	v_accvgpr_write_b32 a216, v138
	v_accvgpr_write_b32 a215, v137
	v_accvgpr_write_b32 a214, v136
	v_accvgpr_write_b32 a212, v134
	v_accvgpr_write_b32 a211, v133
	v_accvgpr_write_b32 a210, v132
	v_accvgpr_write_b32 a221, v149
	v_accvgpr_write_b32 a220, v148
	v_accvgpr_write_b32 a219, v147
	v_accvgpr_write_b32 a218, v146
	v_fmac_f64_e32 v[188:189], v[70:71], v[128:129]
	global_load_dwordx4 v[70:73], v[126:127], off offset:64
	s_waitcnt vmcnt(0) lgkmcnt(12)
	v_mul_f64 v[68:69], v[66:67], v[72:73]
	v_fma_f64 v[206:207], v[64:65], v[70:71], -v[68:69]
	v_mul_f64 v[208:209], v[64:65], v[72:73]
	v_mul_u32_u24_sdwa v64, v230, s6 dst_sel:DWORD dst_unused:UNUSED_PAD src0_sel:WORD_0 src1_sel:DWORD
	v_lshrrev_b32_e32 v218, 19, v64
	v_mul_lo_u16_e32 v64, 10, v218
	v_sub_u16_e32 v219, v230, v64
	v_mul_lo_u16_e32 v64, 0x50, v219
	v_add_co_u32_e64 v64, s[0:1], s14, v64
	v_accvgpr_write_b32 a225, v73
	v_addc_co_u32_e64 v65, s[0:1], 0, v231, s[0:1]
	v_accvgpr_write_b32 a224, v72
	v_accvgpr_write_b32 a223, v71
	;; [unrolled: 1-line block ×3, first 2 shown]
	v_fmac_f64_e32 v[208:209], v[66:67], v[70:71]
	global_load_dwordx4 v[68:71], v[64:65], off offset:48
	global_load_dwordx4 v[72:75], v[64:65], off offset:32
	;; [unrolled: 1-line block ×3, first 2 shown]
	global_load_dwordx4 v[80:83], v[64:65], off
	s_waitcnt vmcnt(3) lgkmcnt(7)
	v_mul_f64 v[204:205], v[48:49], v[70:71]
	s_waitcnt vmcnt(2)
	v_mul_f64 v[192:193], v[52:53], v[74:75]
	s_waitcnt vmcnt(1)
	v_mul_f64 v[200:201], v[56:57], v[78:79]
	s_waitcnt vmcnt(0)
	v_mul_f64 v[66:67], v[62:63], v[82:83]
	v_fma_f64 v[174:175], v[60:61], v[80:81], -v[66:67]
	v_mul_f64 v[178:179], v[60:61], v[82:83]
	v_mul_f64 v[60:61], v[58:59], v[78:79]
	v_fma_f64 v[198:199], v[56:57], v[76:77], -v[60:61]
	v_mul_f64 v[56:57], v[54:55], v[74:75]
	v_fma_f64 v[190:191], v[52:53], v[72:73], -v[56:57]
	;; [unrolled: 2-line block ×3, first 2 shown]
	v_fmac_f64_e32 v[204:205], v[50:51], v[68:69]
	global_load_dwordx4 v[50:53], v[64:65], off offset:64
	v_fmac_f64_e32 v[178:179], v[62:63], v[80:81]
	v_fmac_f64_e32 v[200:201], v[58:59], v[76:77]
	;; [unrolled: 1-line block ×3, first 2 shown]
	v_accvgpr_write_b32 a237, v75
	v_accvgpr_write_b32 a229, v71
	;; [unrolled: 1-line block ×16, first 2 shown]
	s_waitcnt vmcnt(0) lgkmcnt(6)
	v_mul_f64 v[48:49], v[46:47], v[52:53]
	v_fma_f64 v[194:195], v[44:45], v[50:51], -v[48:49]
	v_mul_f64 v[196:197], v[44:45], v[52:53]
	v_mul_u32_u24_sdwa v44, v229, s6 dst_sel:DWORD dst_unused:UNUSED_PAD src0_sel:WORD_0 src1_sel:DWORD
	v_lshrrev_b32_e32 v220, 19, v44
	v_mul_lo_u16_e32 v44, 10, v220
	v_sub_u16_e32 v221, v229, v44
	v_mul_lo_u16_e32 v44, 0x50, v221
	v_add_co_u32_e64 v44, s[0:1], s14, v44
	v_accvgpr_write_b32 a249, v53
	v_addc_co_u32_e64 v45, s[0:1], 0, v231, s[0:1]
	v_accvgpr_write_b32 a248, v52
	v_accvgpr_write_b32 a247, v51
	;; [unrolled: 1-line block ×3, first 2 shown]
	v_fmac_f64_e32 v[196:197], v[46:47], v[50:51]
	global_load_dwordx4 v[48:51], v[44:45], off offset:48
	global_load_dwordx4 v[52:55], v[44:45], off offset:32
	;; [unrolled: 1-line block ×3, first 2 shown]
	global_load_dwordx4 v[60:63], v[44:45], off
	s_mov_b32 s6, s12
	s_waitcnt vmcnt(3) lgkmcnt(1)
	v_mul_f64 v[148:149], v[28:29], v[50:51]
	s_waitcnt vmcnt(2)
	v_mul_f64 v[128:129], v[32:33], v[54:55]
	s_waitcnt vmcnt(1)
	;; [unrolled: 2-line block ×3, first 2 shown]
	v_mul_f64 v[46:47], v[42:43], v[62:63]
	v_fma_f64 v[134:135], v[40:41], v[60:61], -v[46:47]
	v_mul_f64 v[136:137], v[40:41], v[62:63]
	v_mul_f64 v[40:41], v[38:39], v[58:59]
	v_fma_f64 v[138:139], v[36:37], v[56:57], -v[40:41]
	v_mul_f64 v[36:37], v[34:35], v[54:55]
	v_fma_f64 v[126:127], v[32:33], v[52:53], -v[36:37]
	v_mul_f64 v[32:33], v[30:31], v[50:51]
	v_fma_f64 v[146:147], v[28:29], v[48:49], -v[32:33]
	v_fmac_f64_e32 v[148:149], v[30:31], v[48:49]
	global_load_dwordx4 v[30:33], v[44:45], off offset:64
	v_fmac_f64_e32 v[142:143], v[38:39], v[56:57]
	v_fmac_f64_e32 v[136:137], v[42:43], v[60:61]
	v_accvgpr_write_b32 a241, v55
	v_fmac_f64_e32 v[128:129], v[34:35], v[52:53]
	v_accvgpr_write_b32 a233, v51
	v_accvgpr_write_b32 a240, v54
	;; [unrolled: 1-line block ×15, first 2 shown]
	s_waitcnt lgkmcnt(0)
	; wave barrier
	s_waitcnt vmcnt(0) lgkmcnt(0)
	v_mul_f64 v[28:29], v[26:27], v[32:33]
	v_fma_f64 v[130:131], v[24:25], v[30:31], -v[28:29]
	v_mul_f64 v[132:133], v[24:25], v[32:33]
	v_add_f64 v[24:25], v[20:21], v[158:159]
	v_add_f64 v[36:37], v[24:25], v[162:163]
	v_add_f64 v[24:25], v[158:159], v[162:163]
	v_fmac_f64_e32 v[20:21], -0.5, v[24:25]
	v_add_f64 v[24:25], v[160:161], -v[166:167]
	v_fma_f64 v[38:39], s[12:13], v[24:25], v[20:21]
	v_fmac_f64_e32 v[20:21], s[6:7], v[24:25]
	v_add_f64 v[24:25], v[22:23], v[160:161]
	v_add_f64 v[42:43], v[24:25], v[166:167]
	;; [unrolled: 1-line block ×3, first 2 shown]
	v_fmac_f64_e32 v[22:23], -0.5, v[24:25]
	v_add_f64 v[24:25], v[158:159], -v[162:163]
	v_fma_f64 v[44:45], s[6:7], v[24:25], v[22:23]
	v_fmac_f64_e32 v[22:23], s[12:13], v[24:25]
	v_add_f64 v[24:25], v[144:145], v[150:151]
	v_add_f64 v[40:41], v[24:25], v[154:155]
	;; [unrolled: 1-line block ×3, first 2 shown]
	v_fmac_f64_e32 v[144:145], -0.5, v[24:25]
	v_add_f64 v[24:25], v[152:153], -v[156:157]
	v_fmac_f64_e32 v[132:133], v[26:27], v[30:31]
	v_fma_f64 v[26:27], s[12:13], v[24:25], v[144:145]
	v_fmac_f64_e32 v[144:145], s[6:7], v[24:25]
	v_add_f64 v[24:25], v[140:141], v[152:153]
	v_add_f64 v[46:47], v[24:25], v[156:157]
	;; [unrolled: 1-line block ×3, first 2 shown]
	v_fmac_f64_e32 v[140:141], -0.5, v[24:25]
	v_add_f64 v[24:25], v[150:151], -v[154:155]
	v_fma_f64 v[34:35], s[6:7], v[24:25], v[140:141]
	v_mul_f64 v[48:49], v[34:35], s[12:13]
	v_mul_f64 v[52:53], v[26:27], s[6:7]
	v_fmac_f64_e32 v[48:49], 0.5, v[26:27]
	v_fmac_f64_e32 v[52:53], 0.5, v[34:35]
	v_fmac_f64_e32 v[140:141], s[12:13], v[24:25]
	v_add_f64 v[28:29], v[36:37], v[40:41]
	v_add_f64 v[24:25], v[38:39], v[48:49]
	;; [unrolled: 1-line block ×3, first 2 shown]
	v_add_f64 v[40:41], v[36:37], -v[40:41]
	v_add_f64 v[36:37], v[38:39], -v[48:49]
	;; [unrolled: 1-line block ×3, first 2 shown]
	v_add_f64 v[44:45], v[16:17], v[122:123]
	v_add_f64 v[56:57], v[44:45], v[114:115]
	;; [unrolled: 1-line block ×3, first 2 shown]
	v_fmac_f64_e32 v[16:17], -0.5, v[44:45]
	v_add_f64 v[44:45], v[172:173], -v[118:119]
	v_fma_f64 v[58:59], s[12:13], v[44:45], v[16:17]
	v_fmac_f64_e32 v[16:17], s[6:7], v[44:45]
	v_add_f64 v[44:45], v[18:19], v[172:173]
	v_add_f64 v[62:63], v[44:45], v[118:119]
	;; [unrolled: 1-line block ×3, first 2 shown]
	v_fmac_f64_e32 v[18:19], -0.5, v[44:45]
	v_add_f64 v[44:45], v[122:123], -v[114:115]
	v_fma_f64 v[64:65], s[6:7], v[44:45], v[18:19]
	v_fmac_f64_e32 v[18:19], s[12:13], v[44:45]
	v_add_f64 v[44:45], v[124:125], v[116:117]
	v_add_f64 v[60:61], v[44:45], v[108:109]
	;; [unrolled: 1-line block ×3, first 2 shown]
	v_accvgpr_write_b32 a4, v30
	v_fmac_f64_e32 v[124:125], -0.5, v[44:45]
	v_add_f64 v[44:45], v[112:113], -v[110:111]
	v_accvgpr_write_b32 a5, v31
	v_accvgpr_write_b32 a6, v32
	;; [unrolled: 1-line block ×3, first 2 shown]
	v_add_f64 v[30:31], v[42:43], v[46:47]
	v_add_f64 v[42:43], v[42:43], -v[46:47]
	v_fma_f64 v[46:47], s[12:13], v[44:45], v[124:125]
	v_fmac_f64_e32 v[124:125], s[6:7], v[44:45]
	v_add_f64 v[44:45], v[120:121], v[112:113]
	v_mul_f64 v[54:55], v[140:141], -0.5
	v_add_f64 v[66:67], v[44:45], v[110:111]
	v_add_f64 v[44:45], v[112:113], v[110:111]
	v_fmac_f64_e32 v[54:55], s[6:7], v[144:145]
	v_fmac_f64_e32 v[120:121], -0.5, v[44:45]
	v_add_f64 v[44:45], v[116:117], -v[108:109]
	v_add_f64 v[34:35], v[22:23], v[54:55]
	v_add_f64 v[22:23], v[22:23], -v[54:55]
	v_fma_f64 v[54:55], s[6:7], v[44:45], v[120:121]
	v_mul_f64 v[68:69], v[54:55], s[12:13]
	v_mul_f64 v[72:73], v[46:47], s[6:7]
	v_fmac_f64_e32 v[68:69], 0.5, v[46:47]
	v_fmac_f64_e32 v[72:73], 0.5, v[54:55]
	v_fmac_f64_e32 v[120:121], s[12:13], v[44:45]
	v_add_f64 v[48:49], v[56:57], v[60:61]
	v_add_f64 v[44:45], v[58:59], v[68:69]
	;; [unrolled: 1-line block ×3, first 2 shown]
	v_add_f64 v[60:61], v[56:57], -v[60:61]
	v_add_f64 v[56:57], v[58:59], -v[68:69]
	;; [unrolled: 1-line block ×3, first 2 shown]
	v_add_f64 v[64:65], v[12:13], v[102:103]
	v_add_f64 v[76:77], v[64:65], v[176:177]
	;; [unrolled: 1-line block ×3, first 2 shown]
	v_fmac_f64_e32 v[12:13], -0.5, v[64:65]
	v_add_f64 v[64:65], v[106:107], -v[180:181]
	v_fma_f64 v[78:79], s[12:13], v[64:65], v[12:13]
	v_fmac_f64_e32 v[12:13], s[6:7], v[64:65]
	v_add_f64 v[64:65], v[14:15], v[106:107]
	v_add_f64 v[82:83], v[64:65], v[180:181]
	v_add_f64 v[64:65], v[106:107], v[180:181]
	v_fmac_f64_e32 v[14:15], -0.5, v[64:65]
	v_add_f64 v[64:65], v[102:103], -v[176:177]
	v_fma_f64 v[102:103], s[6:7], v[64:65], v[14:15]
	v_fmac_f64_e32 v[14:15], s[12:13], v[64:65]
	v_add_f64 v[64:65], v[104:105], v[98:99]
	v_mul_f64 v[50:51], v[144:145], -0.5
	v_add_f64 v[80:81], v[64:65], v[88:89]
	v_add_f64 v[64:65], v[98:99], v[88:89]
	v_fmac_f64_e32 v[50:51], s[12:13], v[140:141]
	v_fmac_f64_e32 v[104:105], -0.5, v[64:65]
	v_add_f64 v[64:65], v[92:93], -v[84:85]
	v_add_f64 v[32:33], v[20:21], v[50:51]
	v_add_f64 v[20:21], v[20:21], -v[50:51]
	v_add_f64 v[50:51], v[62:63], v[66:67]
	v_add_f64 v[62:63], v[62:63], -v[66:67]
	v_fma_f64 v[66:67], s[12:13], v[64:65], v[104:105]
	v_fmac_f64_e32 v[104:105], s[6:7], v[64:65]
	v_add_f64 v[64:65], v[100:101], v[92:93]
	v_mul_f64 v[74:75], v[120:121], -0.5
	v_add_f64 v[106:107], v[64:65], v[84:85]
	v_add_f64 v[64:65], v[92:93], v[84:85]
	v_fmac_f64_e32 v[74:75], s[6:7], v[124:125]
	v_fmac_f64_e32 v[100:101], -0.5, v[64:65]
	v_add_f64 v[64:65], v[98:99], -v[88:89]
	v_add_f64 v[54:55], v[18:19], v[74:75]
	v_add_f64 v[18:19], v[18:19], -v[74:75]
	v_fma_f64 v[74:75], s[6:7], v[64:65], v[100:101]
	v_fmac_f64_e32 v[100:101], s[12:13], v[64:65]
	v_mul_f64 v[84:85], v[74:75], s[12:13]
	v_fmac_f64_e32 v[84:85], 0.5, v[66:67]
	v_mul_f64 v[98:99], v[100:101], -0.5
	v_add_f64 v[68:69], v[76:77], v[80:81]
	v_add_f64 v[64:65], v[78:79], v[84:85]
	v_mul_f64 v[92:93], v[66:67], s[6:7]
	v_fmac_f64_e32 v[98:99], s[6:7], v[104:105]
	v_add_f64 v[80:81], v[76:77], -v[80:81]
	v_add_f64 v[76:77], v[78:79], -v[84:85]
	v_add_f64 v[84:85], v[8:9], v[182:183]
	v_fmac_f64_e32 v[92:93], 0.5, v[74:75]
	v_add_f64 v[74:75], v[14:15], v[98:99]
	v_add_f64 v[14:15], v[14:15], -v[98:99]
	v_add_f64 v[98:99], v[84:85], v[186:187]
	v_add_f64 v[84:85], v[182:183], v[186:187]
	v_fmac_f64_e32 v[8:9], -0.5, v[84:85]
	v_add_f64 v[84:85], v[184:185], -v[188:189]
	v_add_f64 v[66:67], v[102:103], v[92:93]
	v_add_f64 v[78:79], v[102:103], -v[92:93]
	v_fma_f64 v[102:103], s[12:13], v[84:85], v[8:9]
	v_fmac_f64_e32 v[8:9], s[6:7], v[84:85]
	v_add_f64 v[84:85], v[10:11], v[184:185]
	v_mul_f64 v[70:71], v[124:125], -0.5
	v_mul_f64 v[88:89], v[104:105], -0.5
	v_add_f64 v[104:105], v[84:85], v[188:189]
	v_add_f64 v[84:85], v[184:185], v[188:189]
	v_fmac_f64_e32 v[70:71], s[12:13], v[120:121]
	v_fmac_f64_e32 v[10:11], -0.5, v[84:85]
	v_add_f64 v[84:85], v[182:183], -v[186:187]
	v_add_f64 v[52:53], v[16:17], v[70:71]
	v_add_f64 v[16:17], v[16:17], -v[70:71]
	v_add_f64 v[70:71], v[82:83], v[106:107]
	v_add_f64 v[82:83], v[82:83], -v[106:107]
	v_fma_f64 v[106:107], s[6:7], v[84:85], v[10:11]
	v_fmac_f64_e32 v[10:11], s[12:13], v[84:85]
	v_add_f64 v[84:85], v[94:95], v[86:87]
	v_fmac_f64_e32 v[88:89], s[12:13], v[100:101]
	v_add_f64 v[100:101], v[84:85], v[206:207]
	v_add_f64 v[84:85], v[86:87], v[206:207]
	v_fmac_f64_e32 v[94:95], -0.5, v[84:85]
	v_add_f64 v[84:85], v[90:91], -v[208:209]
	v_fma_f64 v[108:109], s[12:13], v[84:85], v[94:95]
	v_fmac_f64_e32 v[94:95], s[6:7], v[84:85]
	v_add_f64 v[84:85], v[96:97], v[90:91]
	v_add_f64 v[110:111], v[84:85], v[208:209]
	;; [unrolled: 1-line block ×3, first 2 shown]
	v_fmac_f64_e32 v[96:97], -0.5, v[84:85]
	v_add_f64 v[84:85], v[86:87], -v[206:207]
	v_fma_f64 v[86:87], s[6:7], v[84:85], v[96:97]
	v_fmac_f64_e32 v[96:97], s[12:13], v[84:85]
	v_mul_f64 v[112:113], v[86:87], s[12:13]
	v_fmac_f64_e32 v[112:113], 0.5, v[108:109]
	v_mul_f64 v[114:115], v[94:95], -0.5
	v_mul_f64 v[116:117], v[96:97], -0.5
	v_add_f64 v[84:85], v[102:103], v[112:113]
	v_fmac_f64_e32 v[114:115], s[12:13], v[96:97]
	v_add_f64 v[90:91], v[104:105], v[110:111]
	v_fmac_f64_e32 v[116:117], s[6:7], v[94:95]
	v_add_f64 v[96:97], v[102:103], -v[112:113]
	v_add_f64 v[102:103], v[104:105], -v[110:111]
	v_add_f64 v[104:105], v[4:5], v[198:199]
	v_add_f64 v[94:95], v[10:11], v[116:117]
	v_add_f64 v[10:11], v[10:11], -v[116:117]
	v_add_f64 v[116:117], v[104:105], v[202:203]
	v_add_f64 v[104:105], v[198:199], v[202:203]
	v_fmac_f64_e32 v[4:5], -0.5, v[104:105]
	v_add_f64 v[104:105], v[200:201], -v[204:205]
	v_fma_f64 v[118:119], s[12:13], v[104:105], v[4:5]
	v_fmac_f64_e32 v[4:5], s[6:7], v[104:105]
	v_add_f64 v[104:105], v[6:7], v[200:201]
	v_add_f64 v[122:123], v[104:105], v[204:205]
	;; [unrolled: 1-line block ×3, first 2 shown]
	v_fmac_f64_e32 v[6:7], -0.5, v[104:105]
	v_add_f64 v[104:105], v[198:199], -v[202:203]
	v_fma_f64 v[124:125], s[6:7], v[104:105], v[6:7]
	v_fmac_f64_e32 v[6:7], s[12:13], v[104:105]
	v_add_f64 v[104:105], v[174:175], v[190:191]
	v_mul_f64 v[108:109], v[108:109], s[6:7]
	v_add_f64 v[120:121], v[104:105], v[194:195]
	v_add_f64 v[104:105], v[190:191], v[194:195]
	v_fmac_f64_e32 v[108:109], 0.5, v[86:87]
	v_fmac_f64_e32 v[174:175], -0.5, v[104:105]
	v_add_f64 v[104:105], v[192:193], -v[196:197]
	v_add_f64 v[72:73], v[12:13], v[88:89]
	v_add_f64 v[12:13], v[12:13], -v[88:89]
	v_add_f64 v[88:89], v[98:99], v[100:101]
	v_add_f64 v[86:87], v[106:107], v[108:109]
	v_add_f64 v[100:101], v[98:99], -v[100:101]
	v_add_f64 v[98:99], v[106:107], -v[108:109]
	v_fma_f64 v[106:107], s[12:13], v[104:105], v[174:175]
	v_fmac_f64_e32 v[174:175], s[6:7], v[104:105]
	v_add_f64 v[104:105], v[178:179], v[192:193]
	v_add_f64 v[140:141], v[104:105], v[196:197]
	;; [unrolled: 1-line block ×3, first 2 shown]
	v_fmac_f64_e32 v[178:179], -0.5, v[104:105]
	v_add_f64 v[104:105], v[190:191], -v[194:195]
	v_add_f64 v[92:93], v[8:9], v[114:115]
	v_add_f64 v[8:9], v[8:9], -v[114:115]
	v_fma_f64 v[114:115], s[6:7], v[104:105], v[178:179]
	v_mul_f64 v[144:145], v[114:115], s[12:13]
	v_mul_f64 v[152:153], v[106:107], s[6:7]
	v_fmac_f64_e32 v[144:145], 0.5, v[106:107]
	v_fmac_f64_e32 v[152:153], 0.5, v[114:115]
	v_fmac_f64_e32 v[178:179], s[12:13], v[104:105]
	v_add_f64 v[108:109], v[116:117], v[120:121]
	v_add_f64 v[104:105], v[118:119], v[144:145]
	;; [unrolled: 1-line block ×3, first 2 shown]
	v_add_f64 v[120:121], v[116:117], -v[120:121]
	v_add_f64 v[116:117], v[118:119], -v[144:145]
	;; [unrolled: 1-line block ×3, first 2 shown]
	v_add_f64 v[124:125], v[0:1], v[138:139]
	v_add_f64 v[110:111], v[122:123], v[140:141]
	v_add_f64 v[122:123], v[122:123], -v[140:141]
	v_add_f64 v[140:141], v[124:125], v[146:147]
	v_add_f64 v[124:125], v[138:139], v[146:147]
	v_mul_f64 v[150:151], v[174:175], -0.5
	v_fmac_f64_e32 v[0:1], -0.5, v[124:125]
	v_add_f64 v[124:125], v[142:143], -v[148:149]
	v_fmac_f64_e32 v[150:151], s[12:13], v[178:179]
	v_fma_f64 v[144:145], s[12:13], v[124:125], v[0:1]
	v_fmac_f64_e32 v[0:1], s[6:7], v[124:125]
	v_add_f64 v[124:125], v[2:3], v[142:143]
	v_add_f64 v[112:113], v[4:5], v[150:151]
	v_add_f64 v[4:5], v[4:5], -v[150:151]
	v_add_f64 v[150:151], v[124:125], v[148:149]
	v_add_f64 v[124:125], v[142:143], v[148:149]
	v_fmac_f64_e32 v[2:3], -0.5, v[124:125]
	v_add_f64 v[124:125], v[138:139], -v[146:147]
	v_fma_f64 v[138:139], s[6:7], v[124:125], v[2:3]
	v_fmac_f64_e32 v[2:3], s[12:13], v[124:125]
	v_add_f64 v[124:125], v[134:135], v[126:127]
	v_add_f64 v[142:143], v[124:125], v[130:131]
	v_add_f64 v[124:125], v[126:127], v[130:131]
	v_fmac_f64_e32 v[134:135], -0.5, v[124:125]
	v_add_f64 v[124:125], v[128:129], -v[132:133]
	v_fma_f64 v[146:147], s[12:13], v[124:125], v[134:135]
	v_fmac_f64_e32 v[134:135], s[6:7], v[124:125]
	v_add_f64 v[124:125], v[136:137], v[128:129]
	v_add_f64 v[148:149], v[124:125], v[132:133]
	;; [unrolled: 1-line block ×3, first 2 shown]
	v_fmac_f64_e32 v[136:137], -0.5, v[124:125]
	v_add_f64 v[124:125], v[126:127], -v[130:131]
	v_mul_f64 v[154:155], v[178:179], -0.5
	v_fma_f64 v[126:127], s[6:7], v[124:125], v[136:137]
	v_fmac_f64_e32 v[154:155], s[6:7], v[174:175]
	v_mul_f64 v[152:153], v[126:127], s[12:13]
	v_add_f64 v[114:115], v[6:7], v[154:155]
	v_add_f64 v[6:7], v[6:7], -v[154:155]
	v_fmac_f64_e32 v[136:137], s[12:13], v[124:125]
	v_fmac_f64_e32 v[152:153], 0.5, v[146:147]
	v_mul_f64 v[154:155], v[134:135], -0.5
	v_add_f64 v[124:125], v[144:145], v[152:153]
	v_fmac_f64_e32 v[154:155], s[12:13], v[136:137]
	v_mul_f64 v[156:157], v[136:137], -0.5
	v_add_f64 v[136:137], v[144:145], -v[152:153]
	v_mul_u32_u24_e32 v144, 60, v210
	v_add_lshl_u32 v144, v144, v211, 4
	ds_write_b128 v144, v[28:31]
	ds_write_b128 v144, v[24:27] offset:160
	ds_write_b128 v144, v[32:35] offset:320
	ds_write_b128 v144, v[40:43] offset:480
	ds_write_b128 v144, v[36:39] offset:640
	ds_write_b128 v144, v[20:23] offset:800
	v_mul_u32_u24_e32 v20, 60, v212
	v_add_lshl_u32 v20, v20, v213, 4
	ds_write_b128 v20, v[48:51]
	ds_write_b128 v20, v[44:47] offset:160
	ds_write_b128 v20, v[52:55] offset:320
	ds_write_b128 v20, v[60:63] offset:480
	ds_write_b128 v20, v[56:59] offset:640
	ds_write_b128 v20, v[16:19] offset:800
	;; [unrolled: 8-line block ×4, first 2 shown]
	v_mad_legacy_u16 v8, v218, 60, v219
	v_mul_f64 v[146:147], v[146:147], s[6:7]
	v_lshlrev_b32_e32 v8, 4, v8
	v_fmac_f64_e32 v[146:147], 0.5, v[126:127]
	v_fmac_f64_e32 v[156:157], s[6:7], v[134:135]
	ds_write_b128 v8, v[108:111]
	ds_write_b128 v8, v[104:107] offset:160
	ds_write_b128 v8, v[112:115] offset:320
	;; [unrolled: 1-line block ×5, first 2 shown]
	v_mad_legacy_u16 v4, v220, 60, v221
	v_add_f64 v[128:129], v[140:141], v[142:143]
	v_add_f64 v[132:133], v[0:1], v[154:155]
	;; [unrolled: 1-line block ×5, first 2 shown]
	v_add_f64 v[140:141], v[140:141], -v[142:143]
	v_add_f64 v[0:1], v[0:1], -v[154:155]
	;; [unrolled: 1-line block ×5, first 2 shown]
	v_lshlrev_b32_e32 v4, 4, v4
	v_mad_u64_u32 v[172:173], s[0:1], v222, s16, v[170:171]
	v_accvgpr_write_b32 a176, v144
	v_accvgpr_write_b32 a155, v20
	;; [unrolled: 1-line block ×4, first 2 shown]
	buffer_store_dword v8, off, s[24:27], 0 offset:396 ; 4-byte Folded Spill
	ds_write_b128 v4, v[128:131]
	ds_write_b128 v4, v[124:127] offset:160
	ds_write_b128 v4, v[132:135] offset:320
	ds_write_b128 v4, v[140:143] offset:480
	ds_write_b128 v4, v[136:139] offset:640
	buffer_store_dword v4, off, s[24:27], 0 offset:392 ; 4-byte Folded Spill
	ds_write_b128 v4, v[0:3] offset:800
	s_waitcnt lgkmcnt(0)
	; wave barrier
	s_waitcnt lgkmcnt(0)
	ds_read_b128 v[120:123], v164
	ds_read_b128 v[156:159], v164 offset:5760
	ds_read_b128 v[152:155], v164 offset:11520
	;; [unrolled: 1-line block ×35, first 2 shown]
	global_load_dwordx4 v[0:3], v[172:173], off offset:848
	global_load_dwordx4 v[4:7], v[172:173], off offset:832
	;; [unrolled: 1-line block ×4, first 2 shown]
	s_waitcnt vmcnt(3) lgkmcnt(14)
	v_mul_f64 v[222:223], v[16:17], v[2:3]
	s_waitcnt vmcnt(2)
	v_mul_f64 v[214:215], v[148:149], v[6:7]
	s_waitcnt vmcnt(1)
	;; [unrolled: 2-line block ×3, first 2 shown]
	v_mul_f64 v[160:161], v[158:159], v[14:15]
	v_fma_f64 v[188:189], v[156:157], v[12:13], -v[160:161]
	v_mul_f64 v[190:191], v[156:157], v[14:15]
	v_mul_f64 v[156:157], v[154:155], v[10:11]
	v_fma_f64 v[216:217], v[152:153], v[8:9], -v[156:157]
	v_mul_f64 v[152:153], v[150:151], v[6:7]
	v_fma_f64 v[212:213], v[148:149], v[4:5], -v[152:153]
	;; [unrolled: 2-line block ×3, first 2 shown]
	v_fmac_f64_e32 v[222:223], v[18:19], v[0:1]
	global_load_dwordx4 v[16:19], v[172:173], off offset:864
	v_mul_f64 v[184:185], v[140:141], v[14:15]
	v_mul_f64 v[206:207], v[136:137], v[10:11]
	v_mul_f64 v[198:199], v[132:133], v[6:7]
	v_mul_f64 v[210:211], v[128:129], v[2:3]
	v_fmac_f64_e32 v[184:185], v[142:143], v[12:13]
	v_fmac_f64_e32 v[198:199], v[134:135], v[4:5]
	v_fmac_f64_e32 v[210:211], v[130:131], v[0:1]
	v_fmac_f64_e32 v[206:207], v[138:139], v[8:9]
	v_fmac_f64_e32 v[218:219], v[154:155], v[8:9]
	v_fmac_f64_e32 v[190:191], v[158:159], v[12:13]
	v_fmac_f64_e32 v[214:215], v[150:151], v[4:5]
	s_waitcnt vmcnt(0)
	v_mul_f64 v[148:149], v[146:147], v[18:19]
	v_fma_f64 v[224:225], v[144:145], v[16:17], -v[148:149]
	v_mul_f64 v[226:227], v[144:145], v[18:19]
	v_mul_f64 v[144:145], v[142:143], v[14:15]
	v_fma_f64 v[182:183], v[140:141], v[12:13], -v[144:145]
	v_mul_f64 v[140:141], v[138:139], v[10:11]
	v_fma_f64 v[204:205], v[136:137], v[8:9], -v[140:141]
	v_mul_f64 v[136:137], v[134:135], v[6:7]
	v_fma_f64 v[196:197], v[132:133], v[4:5], -v[136:137]
	v_mul_f64 v[132:133], v[130:131], v[2:3]
	v_fma_f64 v[208:209], v[128:129], v[0:1], -v[132:133]
	v_mul_f64 v[128:129], v[126:127], v[18:19]
	v_fma_f64 v[200:201], v[124:125], v[16:17], -v[128:129]
	v_mul_f64 v[202:203], v[124:125], v[18:19]
	v_mul_lo_u16_sdwa v124, v228, s15 dst_sel:DWORD dst_unused:UNUSED_PAD src0_sel:BYTE_0 src1_sel:DWORD
	v_lshrrev_b16_e32 v124, 13, v124
	v_mul_lo_u16_e32 v124, 60, v124
	v_sub_u16_e32 v124, v228, v124
	v_and_b32_e32 v228, 0xff, v124
	v_mad_u64_u32 v[124:125], s[0:1], v228, s16, v[170:171]
	v_fmac_f64_e32 v[226:227], v[146:147], v[16:17]
	global_load_dwordx4 v[128:131], v[124:125], off offset:848
	global_load_dwordx4 v[140:143], v[124:125], off offset:832
	;; [unrolled: 1-line block ×4, first 2 shown]
	v_fmac_f64_e32 v[202:203], v[126:127], v[16:17]
	s_waitcnt vmcnt(3)
	v_mul_f64 v[194:195], v[84:85], v[130:131]
	v_accvgpr_write_b32 a28, v128
	s_waitcnt vmcnt(1)
	v_mul_f64 v[186:187], v[92:93], v[134:135]
	s_waitcnt vmcnt(0)
	v_mul_f64 v[126:127], v[98:99], v[146:147]
	v_fma_f64 v[138:139], v[96:97], v[144:145], -v[126:127]
	v_mul_f64 v[180:181], v[96:97], v[146:147]
	v_mul_f64 v[96:97], v[94:95], v[134:135]
	v_fma_f64 v[136:137], v[92:93], v[132:133], -v[96:97]
	v_accvgpr_write_b32 a32, v132
	v_mul_f64 v[92:93], v[90:91], v[142:143]
	v_accvgpr_write_b32 a33, v133
	v_accvgpr_write_b32 a34, v134
	;; [unrolled: 1-line block ×3, first 2 shown]
	v_fmac_f64_e32 v[186:187], v[94:95], v[132:133]
	v_fma_f64 v[132:133], v[88:89], v[140:141], -v[92:93]
	global_load_dwordx4 v[92:95], v[124:125], off offset:864
	v_mul_f64 v[88:89], v[88:89], v[142:143]
	v_fmac_f64_e32 v[88:89], v[90:91], v[140:141]
	v_mul_f64 v[90:91], v[86:87], v[130:131]
	v_fma_f64 v[192:193], v[84:85], v[128:129], -v[90:91]
	v_accvgpr_write_b32 a29, v129
	v_accvgpr_write_b32 a30, v130
	;; [unrolled: 1-line block ×3, first 2 shown]
	v_fmac_f64_e32 v[194:195], v[86:87], v[128:129]
	v_fmac_f64_e32 v[180:181], v[98:99], v[144:145]
	v_accvgpr_write_b32 a24, v140
	v_accvgpr_write_b32 a25, v141
	;; [unrolled: 1-line block ×8, first 2 shown]
	s_waitcnt vmcnt(0)
	v_mul_f64 v[84:85], v[82:83], v[94:95]
	v_fma_f64 v[90:91], v[80:81], v[92:93], -v[84:85]
	v_mul_f64 v[134:135], v[80:81], v[94:95]
	v_mul_lo_u16_sdwa v80, v169, s15 dst_sel:DWORD dst_unused:UNUSED_PAD src0_sel:BYTE_0 src1_sel:DWORD
	v_lshrrev_b16_e32 v80, 13, v80
	v_mul_lo_u16_e32 v80, 60, v80
	v_sub_u16_e32 v80, v169, v80
	v_accvgpr_write_b32 a113, v95
	v_and_b32_e32 v169, 0xff, v80
	v_accvgpr_write_b32 a112, v94
	v_accvgpr_write_b32 a111, v93
	;; [unrolled: 1-line block ×3, first 2 shown]
	v_fmac_f64_e32 v[134:135], v[82:83], v[92:93]
	v_mad_u64_u32 v[92:93], s[0:1], v169, s16, v[170:171]
	global_load_dwordx4 v[94:97], v[92:93], off offset:848
	global_load_dwordx4 v[84:87], v[92:93], off offset:832
	;; [unrolled: 1-line block ×4, first 2 shown]
	s_mov_b32 s15, 0x8889
	s_waitcnt vmcnt(3)
	v_accvgpr_write_b32 a20, v94
	s_waitcnt vmcnt(2)
	v_accvgpr_write_b32 a44, v84
	v_accvgpr_write_b32 a45, v85
	s_waitcnt vmcnt(0)
	v_mul_f64 v[80:81], v[78:79], v[130:131]
	v_fma_f64 v[80:81], v[76:77], v[128:129], -v[80:81]
	v_mul_f64 v[82:83], v[76:77], v[130:131]
	v_mul_f64 v[76:77], v[74:75], v[126:127]
	v_fmac_f64_e32 v[82:83], v[78:79], v[128:129]
	v_fma_f64 v[76:77], v[72:73], v[124:125], -v[76:77]
	v_mul_f64 v[78:79], v[72:73], v[126:127]
	v_mul_f64 v[72:73], v[70:71], v[86:87]
	v_fma_f64 v[72:73], v[68:69], v[84:85], -v[72:73]
	v_mul_f64 v[68:69], v[68:69], v[86:87]
	v_accvgpr_write_b32 a46, v86
	v_accvgpr_write_b32 a47, v87
	v_fmac_f64_e32 v[68:69], v[70:71], v[84:85]
	s_waitcnt lgkmcnt(13)
	v_mul_f64 v[70:71], v[66:67], v[96:97]
	v_mul_f64 v[86:87], v[64:65], v[96:97]
	v_fma_f64 v[84:85], v[64:65], v[94:95], -v[70:71]
	v_accvgpr_write_b32 a21, v95
	v_accvgpr_write_b32 a22, v96
	;; [unrolled: 1-line block ×3, first 2 shown]
	v_fmac_f64_e32 v[86:87], v[66:67], v[94:95]
	global_load_dwordx4 v[92:95], v[92:93], off offset:864
	v_fmac_f64_e32 v[78:79], v[74:75], v[124:125]
	v_accvgpr_write_b32 a36, v124
	v_accvgpr_write_b32 a37, v125
	;; [unrolled: 1-line block ×8, first 2 shown]
	s_waitcnt vmcnt(0) lgkmcnt(12)
	v_mul_f64 v[64:65], v[62:63], v[94:95]
	v_fma_f64 v[70:71], v[60:61], v[92:93], -v[64:65]
	v_mul_f64 v[74:75], v[60:61], v[94:95]
	v_mul_u32_u24_sdwa v60, v230, s15 dst_sel:DWORD dst_unused:UNUSED_PAD src0_sel:WORD_0 src1_sel:DWORD
	v_lshrrev_b32_e32 v60, 21, v60
	v_mul_lo_u16_e32 v60, 60, v60
	v_sub_u16_e32 v230, v230, v60
	v_mul_lo_u16_e32 v60, 0x50, v230
	v_add_co_u32_e64 v60, s[0:1], s14, v60
	v_accvgpr_write_b32 a84, v92
	v_addc_co_u32_e64 v61, s[0:1], 0, v231, s[0:1]
	v_accvgpr_write_b32 a85, v93
	v_accvgpr_write_b32 a86, v94
	;; [unrolled: 1-line block ×3, first 2 shown]
	v_fmac_f64_e32 v[74:75], v[62:63], v[92:93]
	global_load_dwordx4 v[64:67], v[60:61], off offset:848
	global_load_dwordx4 v[96:99], v[60:61], off offset:832
	;; [unrolled: 1-line block ×4, first 2 shown]
	s_waitcnt vmcnt(3) lgkmcnt(7)
	v_mul_f64 v[178:179], v[44:45], v[66:67]
	v_fmac_f64_e32 v[178:179], v[46:47], v[64:65]
	s_waitcnt vmcnt(1)
	v_mul_f64 v[174:175], v[52:53], v[94:95]
	s_waitcnt vmcnt(0)
	v_mul_f64 v[62:63], v[58:59], v[126:127]
	v_fma_f64 v[140:141], v[56:57], v[124:125], -v[62:63]
	v_mul_f64 v[142:143], v[56:57], v[126:127]
	v_mul_f64 v[56:57], v[54:55], v[94:95]
	v_fma_f64 v[166:167], v[52:53], v[92:93], -v[56:57]
	v_accvgpr_write_b32 a101, v95
	v_mul_f64 v[52:53], v[50:51], v[98:99]
	v_accvgpr_write_b32 a100, v94
	v_accvgpr_write_b32 a99, v93
	v_accvgpr_write_b32 a98, v92
	v_fmac_f64_e32 v[174:175], v[54:55], v[92:93]
	v_fma_f64 v[92:93], v[48:49], v[96:97], -v[52:53]
	v_mul_f64 v[94:95], v[48:49], v[98:99]
	v_mul_f64 v[48:49], v[46:47], v[66:67]
	v_fma_f64 v[176:177], v[44:45], v[64:65], -v[48:49]
	global_load_dwordx4 v[46:49], v[60:61], off offset:864
	v_accvgpr_write_b32 a48, v96
	v_accvgpr_write_b32 a49, v97
	;; [unrolled: 1-line block ×4, first 2 shown]
	v_fmac_f64_e32 v[94:95], v[50:51], v[96:97]
	v_fmac_f64_e32 v[142:143], v[58:59], v[124:125]
	v_accvgpr_write_b32 a114, v124
	v_accvgpr_write_b32 a115, v125
	;; [unrolled: 1-line block ×8, first 2 shown]
	v_add_f64 v[64:65], v[132:133], v[90:91]
	s_waitcnt vmcnt(0) lgkmcnt(6)
	v_mul_f64 v[44:45], v[42:43], v[48:49]
	v_fma_f64 v[96:97], v[40:41], v[46:47], -v[44:45]
	v_mul_f64 v[98:99], v[40:41], v[48:49]
	v_mul_u32_u24_sdwa v40, v229, s15 dst_sel:DWORD dst_unused:UNUSED_PAD src0_sel:WORD_0 src1_sel:DWORD
	v_lshrrev_b32_e32 v40, 21, v40
	v_mul_lo_u16_e32 v40, 60, v40
	v_sub_u16_e32 v229, v229, v40
	v_mul_lo_u16_e32 v40, 0x50, v229
	v_add_co_u32_e64 v40, s[0:1], s14, v40
	v_accvgpr_write_b32 a40, v46
	v_addc_co_u32_e64 v41, s[0:1], 0, v231, s[0:1]
	v_accvgpr_write_b32 a41, v47
	v_accvgpr_write_b32 a42, v48
	;; [unrolled: 1-line block ×3, first 2 shown]
	v_fmac_f64_e32 v[98:99], v[42:43], v[46:47]
	global_load_dwordx4 v[44:47], v[40:41], off offset:848
	global_load_dwordx4 v[48:51], v[40:41], off offset:832
	;; [unrolled: 1-line block ×4, first 2 shown]
	s_movk_i32 s14, 0x15e0
	s_movk_i32 s15, 0x1000
	s_waitcnt vmcnt(3) lgkmcnt(1)
	v_mul_f64 v[162:163], v[24:25], v[46:47]
	s_waitcnt vmcnt(2)
	v_mul_f64 v[146:147], v[28:29], v[50:51]
	s_waitcnt vmcnt(1)
	;; [unrolled: 2-line block ×3, first 2 shown]
	v_mul_f64 v[42:43], v[38:39], v[58:59]
	v_fma_f64 v[154:155], v[36:37], v[56:57], -v[42:43]
	v_mul_f64 v[156:157], v[36:37], v[58:59]
	v_mul_f64 v[36:37], v[34:35], v[54:55]
	v_fma_f64 v[152:153], v[32:33], v[52:53], -v[36:37]
	v_mul_f64 v[32:33], v[30:31], v[50:51]
	v_fma_f64 v[144:145], v[28:29], v[48:49], -v[32:33]
	;; [unrolled: 2-line block ×3, first 2 shown]
	v_fmac_f64_e32 v[162:163], v[26:27], v[44:45]
	global_load_dwordx4 v[26:29], v[40:41], off offset:864
	v_fmac_f64_e32 v[158:159], v[34:35], v[52:53]
	v_fmac_f64_e32 v[156:157], v[38:39], v[56:57]
	;; [unrolled: 1-line block ×3, first 2 shown]
	v_accvgpr_write_b32 a55, v47
	v_accvgpr_write_b32 a54, v46
	v_accvgpr_write_b32 a53, v45
	v_accvgpr_write_b32 a52, v44
	v_accvgpr_write_b32 a105, v51
	v_accvgpr_write_b32 a104, v50
	v_accvgpr_write_b32 a103, v49
	v_accvgpr_write_b32 a102, v48
	v_accvgpr_write_b32 a83, v55
	v_accvgpr_write_b32 a82, v54
	v_accvgpr_write_b32 a81, v53
	v_accvgpr_write_b32 a80, v52
	v_accvgpr_write_b32 a67, v59
	v_accvgpr_write_b32 a66, v58
	v_accvgpr_write_b32 a65, v57
	v_accvgpr_write_b32 a64, v56
	s_waitcnt lgkmcnt(0)
	; wave barrier
	s_waitcnt vmcnt(0) lgkmcnt(0)
	v_mul_f64 v[24:25], v[22:23], v[28:29]
	v_fma_f64 v[148:149], v[20:21], v[26:27], -v[24:25]
	v_mul_f64 v[150:151], v[20:21], v[28:29]
	v_add_f64 v[20:21], v[120:121], v[216:217]
	v_add_f64 v[32:33], v[20:21], v[220:221]
	;; [unrolled: 1-line block ×3, first 2 shown]
	v_fmac_f64_e32 v[120:121], -0.5, v[20:21]
	v_add_f64 v[20:21], v[218:219], -v[222:223]
	v_fma_f64 v[34:35], s[12:13], v[20:21], v[120:121]
	v_fmac_f64_e32 v[120:121], s[6:7], v[20:21]
	v_add_f64 v[20:21], v[122:123], v[218:219]
	v_add_f64 v[36:37], v[20:21], v[222:223]
	;; [unrolled: 1-line block ×3, first 2 shown]
	v_fmac_f64_e32 v[122:123], -0.5, v[20:21]
	v_add_f64 v[20:21], v[216:217], -v[220:221]
	v_fma_f64 v[38:39], s[6:7], v[20:21], v[122:123]
	v_fmac_f64_e32 v[122:123], s[12:13], v[20:21]
	v_add_f64 v[20:21], v[188:189], v[212:213]
	v_add_f64 v[40:41], v[20:21], v[224:225]
	v_add_f64 v[20:21], v[212:213], v[224:225]
	v_fmac_f64_e32 v[188:189], -0.5, v[20:21]
	v_add_f64 v[20:21], v[214:215], -v[226:227]
	v_fmac_f64_e32 v[150:151], v[22:23], v[26:27]
	v_fma_f64 v[22:23], s[12:13], v[20:21], v[188:189]
	v_fmac_f64_e32 v[188:189], s[6:7], v[20:21]
	v_add_f64 v[20:21], v[190:191], v[214:215]
	v_add_f64 v[42:43], v[20:21], v[226:227]
	v_add_f64 v[20:21], v[214:215], v[226:227]
	v_fmac_f64_e32 v[190:191], -0.5, v[20:21]
	v_add_f64 v[20:21], v[212:213], -v[224:225]
	v_fma_f64 v[30:31], s[6:7], v[20:21], v[190:191]
	v_mul_f64 v[44:45], v[30:31], s[12:13]
	v_add_f64 v[24:25], v[32:33], v[40:41]
	v_fmac_f64_e32 v[44:45], 0.5, v[22:23]
	v_add_f64 v[128:129], v[32:33], -v[40:41]
	v_add_f64 v[32:33], v[116:117], v[204:205]
	v_fmac_f64_e32 v[190:191], s[12:13], v[20:21]
	v_add_f64 v[20:21], v[34:35], v[44:45]
	v_mul_f64 v[46:47], v[188:189], -0.5
	v_add_f64 v[124:125], v[34:35], -v[44:45]
	v_add_f64 v[44:45], v[32:33], v[208:209]
	v_add_f64 v[32:33], v[204:205], v[208:209]
	v_accvgpr_write_b32 a109, v29
	v_fmac_f64_e32 v[46:47], s[12:13], v[190:191]
	v_mul_f64 v[50:51], v[190:191], -0.5
	v_fmac_f64_e32 v[116:117], -0.5, v[32:33]
	v_add_f64 v[32:33], v[206:207], -v[210:211]
	v_accvgpr_write_b32 a108, v28
	v_accvgpr_write_b32 a107, v27
	v_accvgpr_write_b32 a106, v26
	v_add_f64 v[28:29], v[120:121], v[46:47]
	v_mul_f64 v[48:49], v[22:23], s[6:7]
	v_fmac_f64_e32 v[50:51], s[6:7], v[188:189]
	v_add_f64 v[120:121], v[120:121], -v[46:47]
	v_fma_f64 v[46:47], s[12:13], v[32:33], v[116:117]
	v_fmac_f64_e32 v[116:117], s[6:7], v[32:33]
	v_add_f64 v[32:33], v[118:119], v[206:207]
	v_fmac_f64_e32 v[48:49], 0.5, v[30:31]
	v_add_f64 v[30:31], v[122:123], v[50:51]
	v_add_f64 v[122:123], v[122:123], -v[50:51]
	v_add_f64 v[50:51], v[32:33], v[210:211]
	v_add_f64 v[32:33], v[206:207], v[210:211]
	v_fmac_f64_e32 v[118:119], -0.5, v[32:33]
	v_add_f64 v[32:33], v[204:205], -v[208:209]
	v_fma_f64 v[54:55], s[6:7], v[32:33], v[118:119]
	v_fmac_f64_e32 v[118:119], s[12:13], v[32:33]
	v_add_f64 v[32:33], v[182:183], v[196:197]
	v_add_f64 v[22:23], v[38:39], v[48:49]
	v_add_f64 v[126:127], v[38:39], -v[48:49]
	v_add_f64 v[48:49], v[32:33], v[200:201]
	v_add_f64 v[32:33], v[196:197], v[200:201]
	v_fmac_f64_e32 v[182:183], -0.5, v[32:33]
	v_add_f64 v[32:33], v[198:199], -v[202:203]
	v_fma_f64 v[34:35], s[12:13], v[32:33], v[182:183]
	v_fmac_f64_e32 v[182:183], s[6:7], v[32:33]
	v_add_f64 v[32:33], v[184:185], v[198:199]
	v_add_f64 v[56:57], v[32:33], v[202:203]
	;; [unrolled: 1-line block ×3, first 2 shown]
	v_fmac_f64_e32 v[184:185], -0.5, v[32:33]
	v_add_f64 v[32:33], v[196:197], -v[200:201]
	v_add_f64 v[26:27], v[36:37], v[42:43]
	v_add_f64 v[130:131], v[36:37], -v[42:43]
	v_fma_f64 v[42:43], s[6:7], v[32:33], v[184:185]
	v_fmac_f64_e32 v[184:185], s[12:13], v[32:33]
	v_mul_f64 v[52:53], v[42:43], s[12:13]
	v_mul_f64 v[58:59], v[182:183], -0.5
	v_fmac_f64_e32 v[52:53], 0.5, v[34:35]
	v_fmac_f64_e32 v[58:59], s[12:13], v[184:185]
	v_mul_f64 v[60:61], v[34:35], s[6:7]
	v_add_f64 v[36:37], v[44:45], v[48:49]
	v_add_f64 v[32:33], v[46:47], v[52:53]
	;; [unrolled: 1-line block ×3, first 2 shown]
	v_fmac_f64_e32 v[60:61], 0.5, v[42:43]
	v_mul_f64 v[62:63], v[184:185], -0.5
	v_add_f64 v[48:49], v[44:45], -v[48:49]
	v_add_f64 v[44:45], v[46:47], -v[52:53]
	;; [unrolled: 1-line block ×3, first 2 shown]
	v_add_f64 v[58:59], v[136:137], v[192:193]
	v_add_f64 v[38:39], v[50:51], v[56:57]
	;; [unrolled: 1-line block ×3, first 2 shown]
	v_fmac_f64_e32 v[62:63], s[6:7], v[182:183]
	v_add_f64 v[50:51], v[50:51], -v[56:57]
	v_add_f64 v[46:47], v[54:55], -v[60:61]
	v_add_f64 v[56:57], v[112:113], v[136:137]
	v_fmac_f64_e32 v[112:113], -0.5, v[58:59]
	v_add_f64 v[58:59], v[186:187], -v[194:195]
	v_add_f64 v[60:61], v[186:187], v[194:195]
	v_add_f64 v[42:43], v[118:119], v[62:63]
	v_add_f64 v[54:55], v[118:119], -v[62:63]
	v_fma_f64 v[62:63], s[12:13], v[58:59], v[112:113]
	v_fmac_f64_e32 v[112:113], s[6:7], v[58:59]
	v_add_f64 v[58:59], v[114:115], v[186:187]
	v_fmac_f64_e32 v[114:115], -0.5, v[60:61]
	v_add_f64 v[60:61], v[136:137], -v[192:193]
	v_fma_f64 v[66:67], s[6:7], v[60:61], v[114:115]
	v_fmac_f64_e32 v[114:115], s[12:13], v[60:61]
	v_add_f64 v[60:61], v[138:139], v[132:133]
	v_fmac_f64_e32 v[138:139], -0.5, v[64:65]
	v_add_f64 v[64:65], v[88:89], -v[134:135]
	v_fma_f64 v[118:119], s[12:13], v[64:65], v[138:139]
	v_fmac_f64_e32 v[138:139], s[6:7], v[64:65]
	v_add_f64 v[64:65], v[180:181], v[88:89]
	v_add_f64 v[182:183], v[64:65], v[134:135]
	;; [unrolled: 1-line block ×3, first 2 shown]
	v_fmac_f64_e32 v[180:181], -0.5, v[64:65]
	v_add_f64 v[64:65], v[132:133], -v[90:91]
	v_fma_f64 v[88:89], s[6:7], v[64:65], v[180:181]
	v_add_f64 v[60:61], v[60:61], v[90:91]
	v_fmac_f64_e32 v[180:181], s[12:13], v[64:65]
	v_mul_f64 v[64:65], v[88:89], s[12:13]
	v_mul_f64 v[90:91], v[138:139], -0.5
	v_mul_f64 v[184:185], v[118:119], s[6:7]
	v_add_f64 v[56:57], v[56:57], v[192:193]
	v_fmac_f64_e32 v[64:65], 0.5, v[118:119]
	v_fmac_f64_e32 v[90:91], s[12:13], v[180:181]
	v_fmac_f64_e32 v[184:185], 0.5, v[88:89]
	v_mul_f64 v[88:89], v[180:181], -0.5
	v_add_f64 v[58:59], v[58:59], v[194:195]
	v_add_f64 v[132:133], v[56:57], v[60:61]
	;; [unrolled: 1-line block ×4, first 2 shown]
	v_fmac_f64_e32 v[88:89], s[6:7], v[138:139]
	v_add_f64 v[60:61], v[56:57], -v[60:61]
	v_add_f64 v[56:57], v[62:63], -v[64:65]
	;; [unrolled: 1-line block ×3, first 2 shown]
	v_add_f64 v[90:91], v[76:77], v[84:85]
	v_add_f64 v[134:135], v[58:59], v[182:183]
	;; [unrolled: 1-line block ×4, first 2 shown]
	v_add_f64 v[62:63], v[58:59], -v[182:183]
	v_add_f64 v[58:59], v[66:67], -v[184:185]
	;; [unrolled: 1-line block ×3, first 2 shown]
	v_add_f64 v[88:89], v[108:109], v[76:77]
	v_fmac_f64_e32 v[108:109], -0.5, v[90:91]
	v_add_f64 v[90:91], v[78:79], -v[86:87]
	v_fma_f64 v[112:113], s[12:13], v[90:91], v[108:109]
	v_fmac_f64_e32 v[108:109], s[6:7], v[90:91]
	v_add_f64 v[90:91], v[110:111], v[78:79]
	v_add_f64 v[78:79], v[78:79], v[86:87]
	v_fmac_f64_e32 v[110:111], -0.5, v[78:79]
	v_add_f64 v[76:77], v[76:77], -v[84:85]
	v_fma_f64 v[114:115], s[6:7], v[76:77], v[110:111]
	v_fmac_f64_e32 v[110:111], s[12:13], v[76:77]
	v_add_f64 v[76:77], v[80:81], v[72:73]
	v_add_f64 v[88:89], v[88:89], v[84:85]
	;; [unrolled: 1-line block ×4, first 2 shown]
	v_fmac_f64_e32 v[80:81], -0.5, v[76:77]
	v_add_f64 v[76:77], v[68:69], -v[74:75]
	v_fma_f64 v[78:79], s[12:13], v[76:77], v[80:81]
	v_fmac_f64_e32 v[80:81], s[6:7], v[76:77]
	v_add_f64 v[76:77], v[82:83], v[68:69]
	v_add_f64 v[68:69], v[68:69], v[74:75]
	v_fmac_f64_e32 v[82:83], -0.5, v[68:69]
	v_add_f64 v[68:69], v[72:73], -v[70:71]
	v_fma_f64 v[70:71], s[6:7], v[68:69], v[82:83]
	v_fmac_f64_e32 v[82:83], s[12:13], v[68:69]
	v_mul_f64 v[182:183], v[80:81], -0.5
	v_mul_f64 v[180:181], v[70:71], s[12:13]
	v_fmac_f64_e32 v[182:183], s[12:13], v[82:83]
	v_add_f64 v[90:91], v[90:91], v[86:87]
	v_add_f64 v[86:87], v[76:77], v[74:75]
	;; [unrolled: 1-line block ×3, first 2 shown]
	v_fmac_f64_e32 v[180:181], 0.5, v[78:79]
	v_add_f64 v[76:77], v[108:109], v[182:183]
	v_mul_f64 v[186:187], v[82:83], -0.5
	v_add_f64 v[84:85], v[88:89], -v[84:85]
	v_add_f64 v[88:89], v[108:109], -v[182:183]
	v_add_f64 v[108:109], v[104:105], v[166:167]
	v_add_f64 v[68:69], v[112:113], v[180:181]
	v_mul_f64 v[184:185], v[78:79], s[6:7]
	v_fmac_f64_e32 v[186:187], s[6:7], v[80:81]
	v_add_f64 v[80:81], v[112:113], -v[180:181]
	v_add_f64 v[112:113], v[108:109], v[176:177]
	v_add_f64 v[108:109], v[166:167], v[176:177]
	v_fmac_f64_e32 v[184:185], 0.5, v[70:71]
	v_fmac_f64_e32 v[104:105], -0.5, v[108:109]
	v_add_f64 v[108:109], v[174:175], -v[178:179]
	v_add_f64 v[70:71], v[114:115], v[184:185]
	v_add_f64 v[82:83], v[114:115], -v[184:185]
	v_fma_f64 v[114:115], s[12:13], v[108:109], v[104:105]
	v_fmac_f64_e32 v[104:105], s[6:7], v[108:109]
	v_add_f64 v[108:109], v[106:107], v[174:175]
	v_add_f64 v[180:181], v[108:109], v[178:179]
	;; [unrolled: 1-line block ×3, first 2 shown]
	v_fmac_f64_e32 v[106:107], -0.5, v[108:109]
	v_add_f64 v[108:109], v[166:167], -v[176:177]
	v_fma_f64 v[166:167], s[6:7], v[108:109], v[106:107]
	v_fmac_f64_e32 v[106:107], s[12:13], v[108:109]
	v_add_f64 v[108:109], v[140:141], v[92:93]
	v_add_f64 v[174:175], v[108:109], v[96:97]
	;; [unrolled: 1-line block ×3, first 2 shown]
	v_fmac_f64_e32 v[140:141], -0.5, v[108:109]
	v_add_f64 v[108:109], v[94:95], -v[98:99]
	v_add_f64 v[74:75], v[90:91], v[86:87]
	v_add_f64 v[78:79], v[110:111], v[186:187]
	v_add_f64 v[86:87], v[90:91], -v[86:87]
	v_add_f64 v[90:91], v[110:111], -v[186:187]
	v_fma_f64 v[110:111], s[12:13], v[108:109], v[140:141]
	v_fmac_f64_e32 v[140:141], s[6:7], v[108:109]
	v_add_f64 v[108:109], v[142:143], v[94:95]
	v_add_f64 v[94:95], v[94:95], v[98:99]
	v_fmac_f64_e32 v[142:143], -0.5, v[94:95]
	v_add_f64 v[92:93], v[92:93], -v[96:97]
	v_fma_f64 v[94:95], s[6:7], v[92:93], v[142:143]
	v_fmac_f64_e32 v[142:143], s[12:13], v[92:93]
	v_mul_f64 v[178:179], v[94:95], s[12:13]
	v_mul_f64 v[184:185], v[110:111], s[6:7]
	v_mul_f64 v[186:187], v[142:143], -0.5
	v_add_f64 v[96:97], v[112:113], v[174:175]
	v_fmac_f64_e32 v[178:179], 0.5, v[110:111]
	v_mul_f64 v[182:183], v[140:141], -0.5
	v_fmac_f64_e32 v[184:185], 0.5, v[94:95]
	v_fmac_f64_e32 v[186:187], s[6:7], v[140:141]
	v_add_f64 v[140:141], v[112:113], -v[174:175]
	v_add_f64 v[174:175], v[152:153], v[160:161]
	v_add_f64 v[176:177], v[108:109], v[98:99]
	;; [unrolled: 1-line block ×4, first 2 shown]
	v_add_f64 v[112:113], v[114:115], -v[178:179]
	v_add_f64 v[114:115], v[166:167], -v[184:185]
	v_add_f64 v[166:167], v[100:101], v[152:153]
	v_fmac_f64_e32 v[100:101], -0.5, v[174:175]
	v_add_f64 v[174:175], v[158:159], -v[162:163]
	v_fmac_f64_e32 v[182:183], s[12:13], v[142:143]
	v_add_f64 v[98:99], v[180:181], v[176:177]
	v_add_f64 v[142:143], v[180:181], -v[176:177]
	v_fma_f64 v[176:177], s[12:13], v[174:175], v[100:101]
	v_fmac_f64_e32 v[100:101], s[6:7], v[174:175]
	v_add_f64 v[174:175], v[102:103], v[158:159]
	v_add_f64 v[158:159], v[158:159], v[162:163]
	v_fmac_f64_e32 v[102:103], -0.5, v[158:159]
	v_add_f64 v[152:153], v[152:153], -v[160:161]
	v_fma_f64 v[158:159], s[6:7], v[152:153], v[102:103]
	v_fmac_f64_e32 v[102:103], s[12:13], v[152:153]
	v_add_f64 v[152:153], v[154:155], v[144:145]
	v_add_f64 v[166:167], v[166:167], v[160:161]
	;; [unrolled: 1-line block ×4, first 2 shown]
	v_fmac_f64_e32 v[154:155], -0.5, v[152:153]
	v_add_f64 v[152:153], v[146:147], -v[150:151]
	ds_write_b128 v164, v[24:27]
	ds_write_b128 v164, v[20:23] offset:960
	ds_write_b128 v164, v[28:31] offset:1920
	;; [unrolled: 1-line block ×11, first 2 shown]
	v_lshlrev_b32_e32 v20, 4, v228
	v_add_f64 v[174:175], v[174:175], v[162:163]
	v_fma_f64 v[162:163], s[12:13], v[152:153], v[154:155]
	v_fmac_f64_e32 v[154:155], s[6:7], v[152:153]
	v_add_f64 v[152:153], v[156:157], v[146:147]
	v_add_f64 v[146:147], v[146:147], v[150:151]
	ds_write_b128 v20, v[132:135] offset:11520
	ds_write_b128 v20, v[116:119] offset:12480
	;; [unrolled: 1-line block ×5, first 2 shown]
	v_accvgpr_write_b32 a3, v20
	ds_write_b128 v20, v[64:67] offset:16320
	v_lshlrev_b32_e32 v20, 4, v169
	v_fmac_f64_e32 v[156:157], -0.5, v[146:147]
	v_add_f64 v[144:145], v[144:145], -v[148:149]
	ds_write_b128 v20, v[72:75] offset:17280
	ds_write_b128 v20, v[68:71] offset:18240
	;; [unrolled: 1-line block ×5, first 2 shown]
	v_accvgpr_write_b32 a255, v20
	ds_write_b128 v20, v[88:91] offset:22080
	v_lshlrev_b32_e32 v20, 4, v230
	v_add_f64 v[108:109], v[104:105], v[182:183]
	v_add_f64 v[110:111], v[106:107], v[186:187]
	v_fma_f64 v[146:147], s[6:7], v[144:145], v[156:157]
	v_fmac_f64_e32 v[156:157], s[12:13], v[144:145]
	ds_write_b128 v20, v[96:99] offset:23040
	ds_write_b128 v20, v[92:95] offset:24000
	;; [unrolled: 1-line block ×5, first 2 shown]
	v_add_co_u32_e64 v140, s[0:1], s14, v172
	v_add_f64 v[104:105], v[104:105], -v[182:183]
	v_add_f64 v[106:107], v[106:107], -v[186:187]
	v_mul_f64 v[180:181], v[146:147], s[12:13]
	v_mul_f64 v[182:183], v[154:155], -0.5
	v_mul_f64 v[184:185], v[162:163], s[6:7]
	v_mul_f64 v[186:187], v[156:157], -0.5
	v_addc_co_u32_e64 v141, s[0:1], 0, v173, s[0:1]
	v_add_f64 v[178:179], v[152:153], v[150:151]
	v_fmac_f64_e32 v[180:181], 0.5, v[162:163]
	v_fmac_f64_e32 v[182:183], s[12:13], v[156:157]
	v_fmac_f64_e32 v[184:185], 0.5, v[146:147]
	v_fmac_f64_e32 v[186:187], s[6:7], v[154:155]
	v_add_co_u32_e64 v142, s[0:1], s15, v172
	v_add_f64 v[148:149], v[166:167], v[160:161]
	v_add_f64 v[144:145], v[176:177], v[180:181]
	;; [unrolled: 1-line block ×6, first 2 shown]
	v_add_f64 v[156:157], v[176:177], -v[180:181]
	v_add_f64 v[100:101], v[100:101], -v[182:183]
	;; [unrolled: 1-line block ×4, first 2 shown]
	v_accvgpr_write_b32 a254, v20
	ds_write_b128 v20, v[104:107] offset:27840
	v_lshlrev_b32_e32 v20, 4, v229
	v_addc_co_u32_e64 v143, s[0:1], 0, v173, s[0:1]
	v_add_f64 v[160:161], v[166:167], -v[160:161]
	v_add_f64 v[162:163], v[174:175], -v[178:179]
	ds_write_b128 v20, v[148:151] offset:28800
	ds_write_b128 v20, v[144:147] offset:29760
	;; [unrolled: 1-line block ×5, first 2 shown]
	v_accvgpr_write_b32 a177, v20
	ds_write_b128 v20, v[100:103] offset:33600
	s_waitcnt lgkmcnt(0)
	; wave barrier
	s_waitcnt lgkmcnt(0)
	ds_read_b128 v[236:239], v164
	ds_read_b128 v[136:139], v164 offset:5760
	ds_read_b128 v[132:135], v164 offset:11520
	ds_read_b128 v[128:131], v164 offset:17280
	ds_read_b128 v[124:127], v164 offset:23040
	ds_read_b128 v[120:123], v164 offset:28800
	ds_read_b128 v[232:235], v164 offset:960
	ds_read_b128 v[116:119], v164 offset:6720
	ds_read_b128 v[112:115], v164 offset:12480
	ds_read_b128 v[108:111], v164 offset:18240
	ds_read_b128 v[104:107], v164 offset:24000
	ds_read_b128 v[100:103], v164 offset:29760
	ds_read_b128 v[228:231], v164 offset:1920
	ds_read_b128 v[96:99], v164 offset:7680
	ds_read_b128 v[92:95], v164 offset:13440
	ds_read_b128 v[88:91], v164 offset:19200
	ds_read_b128 v[84:87], v164 offset:24960
	ds_read_b128 v[80:83], v164 offset:30720
	ds_read_b128 v[224:227], v164 offset:2880
	ds_read_b128 v[76:79], v164 offset:8640
	ds_read_b128 v[72:75], v164 offset:14400
	ds_read_b128 v[68:71], v164 offset:20160
	ds_read_b128 v[64:67], v164 offset:25920
	ds_read_b128 v[60:63], v164 offset:31680
	ds_read_b128 v[220:223], v164 offset:3840
	ds_read_b128 v[56:59], v164 offset:9600
	ds_read_b128 v[52:55], v164 offset:15360
	ds_read_b128 v[48:51], v164 offset:21120
	ds_read_b128 v[44:47], v164 offset:26880
	ds_read_b128 v[40:43], v164 offset:32640
	ds_read_b128 v[240:243], v164 offset:4800
	ds_read_b128 v[36:39], v164 offset:10560
	ds_read_b128 v[32:35], v164 offset:16320
	ds_read_b128 v[28:31], v164 offset:22080
	ds_read_b128 v[24:27], v164 offset:27840
	ds_read_b128 v[20:23], v164 offset:33600
	global_load_dwordx4 v[156:159], v[142:143], off offset:1504
	global_load_dwordx4 v[144:147], v[140:141], off offset:48
	;; [unrolled: 1-line block ×5, first 2 shown]
	s_waitcnt vmcnt(4) lgkmcnt(14)
	v_mul_f64 v[140:141], v[138:139], v[158:159]
	v_fma_f64 v[182:183], v[136:137], v[156:157], -v[140:141]
	v_mul_f64 v[254:255], v[136:137], v[158:159]
	s_waitcnt vmcnt(1)
	v_mul_f64 v[136:137], v[134:135], v[154:155]
	v_fma_f64 v[248:249], v[132:133], v[152:153], -v[136:137]
	v_mul_f64 v[250:251], v[132:133], v[154:155]
	v_mul_f64 v[132:133], v[130:131], v[150:151]
	v_fma_f64 v[244:245], v[128:129], v[148:149], -v[132:133]
	v_mul_f64 v[246:247], v[128:129], v[150:151]
	;; [unrolled: 3-line block ×3, first 2 shown]
	s_waitcnt vmcnt(0)
	v_mul_f64 v[124:125], v[122:123], v[214:215]
	v_mad_u64_u32 v[132:133], s[0:1], v168, s16, v[170:171]
	v_fma_f64 v[252:253], v[120:121], v[212:213], -v[124:125]
	v_mul_f64 v[184:185], v[120:121], v[214:215]
	v_add_co_u32_e64 v120, s[0:1], s14, v132
	v_addc_co_u32_e64 v121, s[0:1], 0, v133, s[0:1]
	v_fmac_f64_e32 v[184:185], v[122:123], v[212:213]
	v_add_co_u32_e64 v122, s[0:1], s15, v132
	v_addc_co_u32_e64 v123, s[0:1], 0, v133, s[0:1]
	v_fmac_f64_e32 v[250:251], v[134:135], v[152:153]
	v_fmac_f64_e32 v[188:189], v[126:127], v[144:145]
	global_load_dwordx4 v[216:219], v[122:123], off offset:1504
	global_load_dwordx4 v[124:127], v[120:121], off offset:48
	;; [unrolled: 1-line block ×4, first 2 shown]
	v_fmac_f64_e32 v[246:247], v[130:131], v[148:149]
	s_movk_i32 s0, 0x28a0
	s_movk_i32 s16, 0x2000
	v_accvgpr_write_b32 a68, v156
	v_accvgpr_write_b32 a122, v152
	;; [unrolled: 1-line block ×5, first 2 shown]
	v_fmac_f64_e32 v[254:255], v[138:139], v[156:157]
	v_accvgpr_write_b32 a123, v153
	v_accvgpr_write_b32 a124, v154
	;; [unrolled: 1-line block ×7, first 2 shown]
	s_movk_i32 s14, 0x6000
	v_accvgpr_write_b32 a94, v144
	v_accvgpr_write_b32 a95, v145
	;; [unrolled: 1-line block ×4, first 2 shown]
	s_waitcnt vmcnt(3)
	v_mul_f64 v[120:121], v[118:119], v[218:219]
	v_fma_f64 v[162:163], v[116:117], v[216:217], -v[120:121]
	v_mul_f64 v[128:129], v[116:117], v[218:219]
	s_waitcnt vmcnt(0)
	v_mul_f64 v[116:117], v[114:115], v[210:211]
	v_fma_f64 v[174:175], v[112:113], v[208:209], -v[116:117]
	v_mul_f64 v[176:177], v[112:113], v[210:211]
	v_mul_f64 v[112:113], v[110:111], v[136:137]
	v_fma_f64 v[130:131], v[108:109], v[134:135], -v[112:113]
	v_mul_f64 v[168:169], v[108:109], v[136:137]
	v_mul_f64 v[108:109], v[106:107], v[126:127]
	;; [unrolled: 1-line block ×3, first 2 shown]
	v_fma_f64 v[178:179], v[104:105], v[124:125], -v[108:109]
	v_fmac_f64_e32 v[180:181], v[106:107], v[124:125]
	global_load_dwordx4 v[106:109], v[122:123], off offset:1568
	v_fmac_f64_e32 v[168:169], v[110:111], v[134:135]
	v_accvgpr_write_b32 a153, v127
	v_accvgpr_write_b32 a152, v126
	;; [unrolled: 1-line block ×4, first 2 shown]
	v_fmac_f64_e32 v[176:177], v[114:115], v[208:209]
	v_fmac_f64_e32 v[128:129], v[118:119], v[216:217]
	v_accvgpr_write_b32 a193, v137
	v_accvgpr_write_b32 a192, v136
	;; [unrolled: 1-line block ×4, first 2 shown]
	s_waitcnt vmcnt(0)
	v_mul_f64 v[104:105], v[102:103], v[108:109]
	v_fma_f64 v[170:171], v[100:101], v[106:107], -v[104:105]
	v_mul_f64 v[172:173], v[100:101], v[108:109]
	v_add_co_u32_e64 v100, s[0:1], s0, v132
	v_addc_co_u32_e64 v101, s[0:1], 0, v133, s[0:1]
	v_add_co_u32_e64 v104, s[0:1], s16, v132
	v_accvgpr_write_b32 a209, v109
	v_addc_co_u32_e64 v105, s[0:1], 0, v133, s[0:1]
	v_accvgpr_write_b32 a208, v108
	v_accvgpr_write_b32 a207, v107
	;; [unrolled: 1-line block ×3, first 2 shown]
	v_fmac_f64_e32 v[172:173], v[102:103], v[106:107]
	global_load_dwordx4 v[204:207], v[104:105], off offset:2208
	global_load_dwordx4 v[106:109], v[100:101], off offset:48
	;; [unrolled: 1-line block ×5, first 2 shown]
	s_movk_i32 s0, 0x3b60
	s_waitcnt vmcnt(4)
	v_mul_f64 v[100:101], v[98:99], v[206:207]
	v_fma_f64 v[100:101], v[96:97], v[204:205], -v[100:101]
	v_mul_f64 v[102:103], v[96:97], v[206:207]
	s_waitcnt vmcnt(1)
	v_mul_f64 v[96:97], v[94:95], v[198:199]
	v_fma_f64 v[154:155], v[92:93], v[196:197], -v[96:97]
	v_mul_f64 v[156:157], v[92:93], v[198:199]
	v_mul_f64 v[92:93], v[90:91], v[112:113]
	v_fma_f64 v[124:125], v[88:89], v[110:111], -v[92:93]
	v_mul_f64 v[126:127], v[88:89], v[112:113]
	;; [unrolled: 3-line block ×3, first 2 shown]
	s_waitcnt vmcnt(0)
	v_mul_f64 v[84:85], v[82:83], v[194:195]
	v_fma_f64 v[150:151], v[80:81], v[192:193], -v[84:85]
	v_mul_f64 v[152:153], v[80:81], v[194:195]
	v_add_co_u32_e64 v80, s[0:1], s0, v132
	v_addc_co_u32_e64 v81, s[0:1], 0, v133, s[0:1]
	v_add_co_u32_e64 v84, s[0:1], s17, v132
	v_accvgpr_write_b32 a185, v113
	v_accvgpr_write_b32 a145, v109
	v_addc_co_u32_e64 v85, s[0:1], 0, v133, s[0:1]
	v_fmac_f64_e32 v[102:103], v[98:99], v[204:205]
	v_accvgpr_write_b32 a184, v112
	v_accvgpr_write_b32 a183, v111
	;; [unrolled: 1-line block ×3, first 2 shown]
	v_fmac_f64_e32 v[126:127], v[90:91], v[110:111]
	v_accvgpr_write_b32 a144, v108
	v_accvgpr_write_b32 a143, v107
	;; [unrolled: 1-line block ×3, first 2 shown]
	v_fmac_f64_e32 v[160:161], v[86:87], v[106:107]
	global_load_dwordx4 v[200:203], v[84:85], off offset:2912
	global_load_dwordx4 v[104:107], v[80:81], off offset:48
	;; [unrolled: 1-line block ×4, first 2 shown]
	v_fmac_f64_e32 v[156:157], v[94:95], v[196:197]
	v_fmac_f64_e32 v[152:153], v[82:83], v[192:193]
	s_movk_i32 s0, 0x4e20
	s_waitcnt vmcnt(3)
	v_mul_f64 v[80:81], v[78:79], v[202:203]
	v_fma_f64 v[90:91], v[76:77], v[200:201], -v[80:81]
	v_mul_f64 v[92:93], v[76:77], v[202:203]
	s_waitcnt vmcnt(0)
	v_mul_f64 v[76:77], v[74:75], v[110:111]
	v_fma_f64 v[88:89], v[72:73], v[108:109], -v[76:77]
	v_mul_f64 v[94:95], v[72:73], v[110:111]
	v_mul_f64 v[72:73], v[70:71], v[98:99]
	v_accvgpr_write_b32 a163, v99
	v_fma_f64 v[80:81], v[68:69], v[96:97], -v[72:73]
	v_mul_f64 v[82:83], v[68:69], v[98:99]
	v_accvgpr_write_b32 a162, v98
	v_accvgpr_write_b32 a161, v97
	;; [unrolled: 1-line block ×3, first 2 shown]
	s_waitcnt lgkmcnt(13)
	v_mul_f64 v[68:69], v[66:67], v[106:107]
	v_mul_f64 v[98:99], v[64:65], v[106:107]
	v_fmac_f64_e32 v[82:83], v[70:71], v[96:97]
	v_fma_f64 v[96:97], v[64:65], v[104:105], -v[68:69]
	v_fmac_f64_e32 v[98:99], v[66:67], v[104:105]
	global_load_dwordx4 v[66:69], v[84:85], off offset:2976
	v_fmac_f64_e32 v[92:93], v[78:79], v[200:201]
	v_fmac_f64_e32 v[94:95], v[74:75], v[108:109]
	v_accvgpr_write_b32 a76, v104
	v_accvgpr_write_b32 a77, v105
	;; [unrolled: 1-line block ×8, first 2 shown]
	s_waitcnt vmcnt(0) lgkmcnt(12)
	v_mul_f64 v[64:65], v[62:63], v[68:69]
	v_fma_f64 v[84:85], v[60:61], v[66:67], -v[64:65]
	v_mul_f64 v[86:87], v[60:61], v[68:69]
	v_add_co_u32_e64 v60, s[0:1], s0, v132
	v_addc_co_u32_e64 v61, s[0:1], 0, v133, s[0:1]
	v_fmac_f64_e32 v[86:87], v[62:63], v[66:67]
	v_add_co_u32_e64 v62, s[0:1], s18, v132
	v_accvgpr_write_b32 a181, v69
	v_addc_co_u32_e64 v63, s[0:1], 0, v133, s[0:1]
	v_accvgpr_write_b32 a180, v68
	v_accvgpr_write_b32 a179, v67
	;; [unrolled: 1-line block ×3, first 2 shown]
	global_load_dwordx4 v[76:79], v[62:63], off offset:3616
	global_load_dwordx4 v[64:67], v[60:61], off offset:48
	;; [unrolled: 1-line block ×4, first 2 shown]
	s_movk_i32 s0, 0x60e0
	s_waitcnt vmcnt(3) lgkmcnt(10)
	v_mul_f64 v[60:61], v[58:59], v[78:79]
	v_fma_f64 v[114:115], v[56:57], v[76:77], -v[60:61]
	v_mul_f64 v[116:117], v[56:57], v[78:79]
	s_waitcnt vmcnt(0) lgkmcnt(9)
	v_mul_f64 v[56:57], v[54:55], v[74:75]
	v_fma_f64 v[112:113], v[52:53], v[72:73], -v[56:57]
	v_mul_f64 v[118:119], v[52:53], v[74:75]
	s_waitcnt lgkmcnt(8)
	v_mul_f64 v[52:53], v[50:51], v[70:71]
	v_fma_f64 v[104:105], v[48:49], v[68:69], -v[52:53]
	v_mul_f64 v[106:107], v[48:49], v[70:71]
	s_waitcnt lgkmcnt(7)
	v_mul_f64 v[48:49], v[46:47], v[66:67]
	v_mul_f64 v[122:123], v[44:45], v[66:67]
	v_fma_f64 v[120:121], v[44:45], v[64:65], -v[48:49]
	v_fmac_f64_e32 v[122:123], v[46:47], v[64:65]
	global_load_dwordx4 v[46:49], v[62:63], off offset:3680
	v_fmac_f64_e32 v[116:117], v[58:59], v[76:77]
	v_fmac_f64_e32 v[118:119], v[54:55], v[72:73]
	;; [unrolled: 1-line block ×3, first 2 shown]
	v_accvgpr_write_b32 a159, v71
	v_accvgpr_write_b32 a158, v70
	;; [unrolled: 1-line block ×16, first 2 shown]
	s_waitcnt vmcnt(0) lgkmcnt(6)
	v_mul_f64 v[44:45], v[42:43], v[48:49]
	v_fma_f64 v[108:109], v[40:41], v[46:47], -v[44:45]
	v_mul_f64 v[110:111], v[40:41], v[48:49]
	v_add_co_u32_e64 v40, s[0:1], s0, v132
	v_addc_co_u32_e64 v41, s[0:1], 0, v133, s[0:1]
	v_fmac_f64_e32 v[110:111], v[42:43], v[46:47]
	v_add_co_u32_e64 v42, s[0:1], s14, v132
	v_accvgpr_write_b32 a167, v49
	v_addc_co_u32_e64 v43, s[0:1], 0, v133, s[0:1]
	v_accvgpr_write_b32 a166, v48
	v_accvgpr_write_b32 a165, v47
	;; [unrolled: 1-line block ×3, first 2 shown]
	global_load_dwordx4 v[56:59], v[42:43], off offset:224
	global_load_dwordx4 v[44:47], v[40:41], off offset:48
	;; [unrolled: 1-line block ×4, first 2 shown]
	s_waitcnt vmcnt(3) lgkmcnt(4)
	v_mul_f64 v[40:41], v[38:39], v[58:59]
	v_fma_f64 v[166:167], v[36:37], v[56:57], -v[40:41]
	v_mul_f64 v[132:133], v[36:37], v[58:59]
	s_waitcnt vmcnt(0) lgkmcnt(3)
	v_mul_f64 v[36:37], v[34:35], v[54:55]
	v_fma_f64 v[142:143], v[32:33], v[52:53], -v[36:37]
	v_mul_f64 v[144:145], v[32:33], v[54:55]
	s_waitcnt lgkmcnt(2)
	v_mul_f64 v[32:33], v[30:31], v[50:51]
	v_fma_f64 v[134:135], v[28:29], v[48:49], -v[32:33]
	v_mul_f64 v[136:137], v[28:29], v[50:51]
	s_waitcnt lgkmcnt(1)
	v_mul_f64 v[28:29], v[26:27], v[46:47]
	v_mul_f64 v[148:149], v[24:25], v[46:47]
	v_fma_f64 v[146:147], v[24:25], v[44:45], -v[28:29]
	v_fmac_f64_e32 v[148:149], v[26:27], v[44:45]
	global_load_dwordx4 v[26:29], v[42:43], off offset:288
	v_fmac_f64_e32 v[136:137], v[30:31], v[48:49]
	v_fmac_f64_e32 v[144:145], v[34:35], v[52:53]
	v_accvgpr_write_b32 a59, v47
	v_accvgpr_write_b32 a58, v46
	;; [unrolled: 1-line block ×13, first 2 shown]
	v_fmac_f64_e32 v[132:133], v[38:39], v[56:57]
	v_accvgpr_write_b32 a196, v58
	v_accvgpr_write_b32 a195, v57
	;; [unrolled: 1-line block ×3, first 2 shown]
	s_waitcnt vmcnt(0) lgkmcnt(0)
	v_mul_f64 v[140:141], v[20:21], v[28:29]
	v_mul_f64 v[24:25], v[22:23], v[28:29]
	v_fmac_f64_e32 v[140:141], v[22:23], v[26:27]
	v_add_f64 v[22:23], v[248:249], v[186:187]
	v_fma_f64 v[138:139], v[20:21], v[26:27], -v[24:25]
	v_accvgpr_write_b32 a175, v29
	v_add_f64 v[20:21], v[236:237], v[248:249]
	v_fmac_f64_e32 v[236:237], -0.5, v[22:23]
	v_add_f64 v[22:23], v[250:251], -v[188:189]
	v_add_f64 v[24:25], v[250:251], v[188:189]
	v_accvgpr_write_b32 a174, v28
	v_accvgpr_write_b32 a173, v27
	;; [unrolled: 1-line block ×3, first 2 shown]
	v_fma_f64 v[26:27], s[12:13], v[22:23], v[236:237]
	v_fmac_f64_e32 v[236:237], s[6:7], v[22:23]
	v_add_f64 v[22:23], v[238:239], v[250:251]
	v_fmac_f64_e32 v[238:239], -0.5, v[24:25]
	v_add_f64 v[24:25], v[248:249], -v[186:187]
	v_add_f64 v[28:29], v[244:245], v[252:253]
	v_fma_f64 v[30:31], s[6:7], v[24:25], v[238:239]
	v_fmac_f64_e32 v[238:239], s[12:13], v[24:25]
	v_add_f64 v[24:25], v[182:183], v[244:245]
	v_fmac_f64_e32 v[182:183], -0.5, v[28:29]
	v_add_f64 v[28:29], v[246:247], -v[184:185]
	v_fma_f64 v[32:33], s[12:13], v[28:29], v[182:183]
	v_fmac_f64_e32 v[182:183], s[6:7], v[28:29]
	v_add_f64 v[28:29], v[254:255], v[246:247]
	v_add_f64 v[34:35], v[28:29], v[184:185]
	;; [unrolled: 1-line block ×3, first 2 shown]
	v_fmac_f64_e32 v[254:255], -0.5, v[28:29]
	v_add_f64 v[28:29], v[244:245], -v[252:253]
	v_fma_f64 v[36:37], s[6:7], v[28:29], v[254:255]
	v_fmac_f64_e32 v[254:255], s[12:13], v[28:29]
	v_mul_f64 v[28:29], v[36:37], s[12:13]
	v_fmac_f64_e32 v[28:29], 0.5, v[32:33]
	v_mul_f64 v[32:33], v[32:33], s[6:7]
	v_add_f64 v[20:21], v[20:21], v[186:187]
	v_add_f64 v[22:23], v[22:23], v[188:189]
	;; [unrolled: 1-line block ×3, first 2 shown]
	v_fmac_f64_e32 v[32:33], 0.5, v[36:37]
	v_add_f64 v[248:249], v[20:21], v[24:25]
	v_add_f64 v[244:245], v[26:27], v[28:29]
	v_add_f64 v[250:251], v[22:23], v[34:35]
	v_add_f64 v[246:247], v[30:31], v[32:33]
	v_add_f64 v[24:25], v[20:21], -v[24:25]
	v_add_f64 v[20:21], v[26:27], -v[28:29]
	;; [unrolled: 1-line block ×4, first 2 shown]
	v_add_f64 v[32:33], v[232:233], v[174:175]
	v_add_f64 v[44:45], v[32:33], v[178:179]
	;; [unrolled: 1-line block ×3, first 2 shown]
	v_fmac_f64_e32 v[232:233], -0.5, v[32:33]
	v_add_f64 v[32:33], v[176:177], -v[180:181]
	v_fma_f64 v[46:47], s[12:13], v[32:33], v[232:233]
	v_fmac_f64_e32 v[232:233], s[6:7], v[32:33]
	v_add_f64 v[32:33], v[234:235], v[176:177]
	v_add_f64 v[50:51], v[32:33], v[180:181]
	;; [unrolled: 1-line block ×3, first 2 shown]
	v_fmac_f64_e32 v[234:235], -0.5, v[32:33]
	v_add_f64 v[32:33], v[174:175], -v[178:179]
	v_fma_f64 v[54:55], s[6:7], v[32:33], v[234:235]
	v_fmac_f64_e32 v[234:235], s[12:13], v[32:33]
	v_add_f64 v[32:33], v[162:163], v[130:131]
	v_add_f64 v[48:49], v[32:33], v[170:171]
	;; [unrolled: 1-line block ×3, first 2 shown]
	v_fmac_f64_e32 v[162:163], -0.5, v[32:33]
	v_add_f64 v[32:33], v[168:169], -v[172:173]
	v_mul_f64 v[38:39], v[182:183], -0.5
	v_fma_f64 v[34:35], s[12:13], v[32:33], v[162:163]
	v_fmac_f64_e32 v[162:163], s[6:7], v[32:33]
	v_add_f64 v[32:33], v[128:129], v[168:169]
	v_fmac_f64_e32 v[38:39], s[12:13], v[254:255]
	v_add_f64 v[56:57], v[32:33], v[172:173]
	v_add_f64 v[252:253], v[236:237], v[38:39]
	v_add_f64 v[28:29], v[236:237], -v[38:39]
	v_add_f64 v[38:39], v[50:51], v[56:57]
	v_add_f64 v[50:51], v[50:51], -v[56:57]
	v_add_f64 v[56:57], v[228:229], v[154:155]
	v_add_f64 v[68:69], v[56:57], v[158:159]
	;; [unrolled: 1-line block ×3, first 2 shown]
	v_fmac_f64_e32 v[228:229], -0.5, v[56:57]
	v_add_f64 v[56:57], v[156:157], -v[160:161]
	v_fma_f64 v[70:71], s[12:13], v[56:57], v[228:229]
	v_fmac_f64_e32 v[228:229], s[6:7], v[56:57]
	v_add_f64 v[56:57], v[230:231], v[156:157]
	v_add_f64 v[32:33], v[168:169], v[172:173]
	;; [unrolled: 1-line block ×4, first 2 shown]
	v_fmac_f64_e32 v[128:129], -0.5, v[32:33]
	v_add_f64 v[32:33], v[130:131], -v[170:171]
	v_fmac_f64_e32 v[230:231], -0.5, v[56:57]
	v_add_f64 v[56:57], v[154:155], -v[158:159]
	v_fma_f64 v[42:43], s[6:7], v[32:33], v[128:129]
	v_fma_f64 v[78:79], s[6:7], v[56:57], v[230:231]
	v_fmac_f64_e32 v[230:231], s[12:13], v[56:57]
	v_add_f64 v[56:57], v[100:101], v[124:125]
	v_mul_f64 v[36:37], v[254:255], -0.5
	v_fmac_f64_e32 v[128:129], s[12:13], v[32:33]
	v_mul_f64 v[52:53], v[42:43], s[12:13]
	v_mul_f64 v[58:59], v[162:163], -0.5
	v_add_f64 v[72:73], v[56:57], v[150:151]
	v_add_f64 v[56:57], v[124:125], v[150:151]
	v_fmac_f64_e32 v[36:37], s[6:7], v[182:183]
	v_fmac_f64_e32 v[52:53], 0.5, v[34:35]
	v_fmac_f64_e32 v[58:59], s[12:13], v[128:129]
	v_fmac_f64_e32 v[100:101], -0.5, v[56:57]
	v_add_f64 v[56:57], v[126:127], -v[152:153]
	v_add_f64 v[254:255], v[238:239], v[36:37]
	v_add_f64 v[30:31], v[238:239], -v[36:37]
	v_add_f64 v[36:37], v[44:45], v[48:49]
	v_add_f64 v[32:33], v[46:47], v[52:53]
	;; [unrolled: 1-line block ×3, first 2 shown]
	v_add_f64 v[48:49], v[44:45], -v[48:49]
	v_add_f64 v[44:45], v[46:47], -v[52:53]
	;; [unrolled: 1-line block ×3, first 2 shown]
	v_fma_f64 v[58:59], s[12:13], v[56:57], v[100:101]
	v_fmac_f64_e32 v[100:101], s[6:7], v[56:57]
	v_add_f64 v[56:57], v[102:103], v[126:127]
	v_mul_f64 v[62:63], v[128:129], -0.5
	v_add_f64 v[128:129], v[56:57], v[152:153]
	v_add_f64 v[56:57], v[126:127], v[152:153]
	v_fmac_f64_e32 v[102:103], -0.5, v[56:57]
	v_add_f64 v[56:57], v[124:125], -v[150:151]
	v_fma_f64 v[66:67], s[6:7], v[56:57], v[102:103]
	v_fmac_f64_e32 v[102:103], s[12:13], v[56:57]
	v_mul_f64 v[124:125], v[100:101], -0.5
	v_mul_f64 v[60:61], v[34:35], s[6:7]
	v_mul_f64 v[76:77], v[66:67], s[12:13]
	v_fmac_f64_e32 v[124:125], s[12:13], v[102:103]
	v_mul_f64 v[126:127], v[58:59], s[6:7]
	v_mul_f64 v[102:103], v[102:103], -0.5
	v_fmac_f64_e32 v[60:61], 0.5, v[42:43]
	v_fmac_f64_e32 v[76:77], 0.5, v[58:59]
	;; [unrolled: 1-line block ×3, first 2 shown]
	v_fmac_f64_e32 v[102:103], s[6:7], v[100:101]
	v_add_f64 v[34:35], v[54:55], v[60:61]
	v_add_f64 v[46:47], v[54:55], -v[60:61]
	v_add_f64 v[60:61], v[68:69], v[72:73]
	v_add_f64 v[56:57], v[70:71], v[76:77]
	v_add_f64 v[58:59], v[78:79], v[126:127]
	v_add_f64 v[66:67], v[230:231], v[102:103]
	v_add_f64 v[72:73], v[68:69], -v[72:73]
	v_add_f64 v[68:69], v[70:71], -v[76:77]
	;; [unrolled: 1-line block ×4, first 2 shown]
	v_add_f64 v[102:103], v[88:89], v[96:97]
	v_add_f64 v[100:101], v[224:225], v[88:89]
	v_fmac_f64_e32 v[224:225], -0.5, v[102:103]
	v_add_f64 v[102:103], v[94:95], -v[98:99]
	v_add_f64 v[64:65], v[228:229], v[124:125]
	v_add_f64 v[76:77], v[228:229], -v[124:125]
	v_fma_f64 v[124:125], s[12:13], v[102:103], v[224:225]
	v_fmac_f64_e32 v[224:225], s[6:7], v[102:103]
	v_add_f64 v[102:103], v[226:227], v[94:95]
	v_add_f64 v[94:95], v[94:95], v[98:99]
	v_fmac_f64_e32 v[226:227], -0.5, v[94:95]
	v_add_f64 v[88:89], v[88:89], -v[96:97]
	v_fma_f64 v[94:95], s[6:7], v[88:89], v[226:227]
	v_fmac_f64_e32 v[226:227], s[12:13], v[88:89]
	v_add_f64 v[88:89], v[90:91], v[80:81]
	v_add_f64 v[100:101], v[100:101], v[96:97]
	v_add_f64 v[96:97], v[88:89], v[84:85]
	v_add_f64 v[88:89], v[80:81], v[84:85]
	v_fmac_f64_e32 v[90:91], -0.5, v[88:89]
	v_add_f64 v[88:89], v[82:83], -v[86:87]
	v_add_f64 v[102:103], v[102:103], v[98:99]
	v_fma_f64 v[98:99], s[12:13], v[88:89], v[90:91]
	v_fmac_f64_e32 v[90:91], s[6:7], v[88:89]
	v_add_f64 v[88:89], v[92:93], v[82:83]
	v_add_f64 v[82:83], v[82:83], v[86:87]
	v_fmac_f64_e32 v[92:93], -0.5, v[82:83]
	v_add_f64 v[80:81], v[80:81], -v[84:85]
	v_fmac_f64_e32 v[62:63], s[6:7], v[162:163]
	v_fma_f64 v[82:83], s[6:7], v[80:81], v[92:93]
	v_add_f64 v[42:43], v[234:235], v[62:63]
	v_add_f64 v[54:55], v[234:235], -v[62:63]
	v_add_f64 v[62:63], v[74:75], v[128:129]
	v_add_f64 v[74:75], v[74:75], -v[128:129]
	v_add_f64 v[126:127], v[88:89], v[86:87]
	v_mul_f64 v[128:129], v[82:83], s[12:13]
	v_fmac_f64_e32 v[92:93], s[12:13], v[80:81]
	v_fmac_f64_e32 v[128:129], 0.5, v[98:99]
	v_mul_f64 v[130:131], v[90:91], -0.5
	v_add_f64 v[86:87], v[102:103], v[126:127]
	v_mul_f64 v[150:151], v[98:99], s[6:7]
	v_add_f64 v[98:99], v[102:103], -v[126:127]
	v_add_f64 v[126:127], v[112:113], v[120:121]
	v_add_f64 v[80:81], v[124:125], v[128:129]
	v_fmac_f64_e32 v[130:131], s[12:13], v[92:93]
	v_mul_f64 v[152:153], v[92:93], -0.5
	v_add_f64 v[92:93], v[124:125], -v[128:129]
	v_add_f64 v[124:125], v[220:221], v[112:113]
	v_fmac_f64_e32 v[220:221], -0.5, v[126:127]
	v_add_f64 v[126:127], v[118:119], -v[122:123]
	v_fma_f64 v[128:129], s[12:13], v[126:127], v[220:221]
	v_fmac_f64_e32 v[220:221], s[6:7], v[126:127]
	v_add_f64 v[126:127], v[222:223], v[118:119]
	v_add_f64 v[118:119], v[118:119], v[122:123]
	v_fmac_f64_e32 v[222:223], -0.5, v[118:119]
	v_add_f64 v[112:113], v[112:113], -v[120:121]
	v_fma_f64 v[118:119], s[6:7], v[112:113], v[222:223]
	v_fmac_f64_e32 v[222:223], s[12:13], v[112:113]
	v_add_f64 v[112:113], v[114:115], v[104:105]
	v_add_f64 v[124:125], v[124:125], v[120:121]
	;; [unrolled: 1-line block ×4, first 2 shown]
	v_fmac_f64_e32 v[114:115], -0.5, v[112:113]
	v_add_f64 v[112:113], v[106:107], -v[110:111]
	v_add_f64 v[126:127], v[126:127], v[122:123]
	v_fma_f64 v[122:123], s[12:13], v[112:113], v[114:115]
	v_fmac_f64_e32 v[114:115], s[6:7], v[112:113]
	v_add_f64 v[112:113], v[116:117], v[106:107]
	v_add_f64 v[106:107], v[106:107], v[110:111]
	v_fmac_f64_e32 v[116:117], -0.5, v[106:107]
	v_add_f64 v[104:105], v[104:105], -v[108:109]
	v_fmac_f64_e32 v[150:151], 0.5, v[82:83]
	v_fma_f64 v[106:107], s[6:7], v[104:105], v[116:117]
	v_add_f64 v[84:85], v[100:101], v[96:97]
	v_add_f64 v[88:89], v[224:225], v[130:131]
	v_add_f64 v[82:83], v[94:95], v[150:151]
	v_fmac_f64_e32 v[152:153], s[6:7], v[90:91]
	v_add_f64 v[96:97], v[100:101], -v[96:97]
	v_add_f64 v[100:101], v[224:225], -v[130:131]
	;; [unrolled: 1-line block ×3, first 2 shown]
	v_add_f64 v[130:131], v[112:113], v[110:111]
	v_mul_f64 v[150:151], v[106:107], s[12:13]
	v_add_f64 v[90:91], v[226:227], v[152:153]
	v_add_f64 v[102:103], v[226:227], -v[152:153]
	v_fmac_f64_e32 v[116:117], s[12:13], v[104:105]
	v_fmac_f64_e32 v[150:151], 0.5, v[122:123]
	v_mul_f64 v[152:153], v[114:115], -0.5
	v_add_f64 v[110:111], v[126:127], v[130:131]
	v_mul_f64 v[154:155], v[122:123], s[6:7]
	v_add_f64 v[122:123], v[126:127], -v[130:131]
	v_add_f64 v[130:131], v[142:143], v[146:147]
	v_add_f64 v[104:105], v[128:129], v[150:151]
	v_fmac_f64_e32 v[152:153], s[12:13], v[116:117]
	v_mul_f64 v[156:157], v[116:117], -0.5
	v_add_f64 v[116:117], v[128:129], -v[150:151]
	v_add_f64 v[128:129], v[240:241], v[142:143]
	v_fmac_f64_e32 v[240:241], -0.5, v[130:131]
	v_add_f64 v[130:131], v[144:145], -v[148:149]
	v_fma_f64 v[150:151], s[12:13], v[130:131], v[240:241]
	v_fmac_f64_e32 v[240:241], s[6:7], v[130:131]
	v_add_f64 v[130:131], v[242:243], v[144:145]
	v_add_f64 v[144:145], v[144:145], v[148:149]
	;; [unrolled: 1-line block ×3, first 2 shown]
	v_fmac_f64_e32 v[242:243], -0.5, v[144:145]
	v_add_f64 v[142:143], v[142:143], -v[146:147]
	v_add_f64 v[146:147], v[134:135], v[138:139]
	v_fma_f64 v[144:145], s[6:7], v[142:143], v[242:243]
	v_fmac_f64_e32 v[242:243], s[12:13], v[142:143]
	v_add_f64 v[142:143], v[166:167], v[134:135]
	v_fmac_f64_e32 v[166:167], -0.5, v[146:147]
	v_add_f64 v[146:147], v[136:137], -v[140:141]
	v_add_f64 v[130:131], v[130:131], v[148:149]
	v_fma_f64 v[148:149], s[12:13], v[146:147], v[166:167]
	v_fmac_f64_e32 v[166:167], s[6:7], v[146:147]
	v_add_f64 v[146:147], v[132:133], v[136:137]
	v_add_f64 v[136:137], v[136:137], v[140:141]
	v_fmac_f64_e32 v[132:133], -0.5, v[136:137]
	v_add_f64 v[134:135], v[134:135], -v[138:139]
	v_add_f64 v[142:143], v[142:143], v[138:139]
	v_fma_f64 v[136:137], s[6:7], v[134:135], v[132:133]
	v_fmac_f64_e32 v[132:133], s[12:13], v[134:135]
	v_mul_f64 v[138:139], v[166:167], -0.5
	v_add_f64 v[146:147], v[146:147], v[140:141]
	v_mul_f64 v[134:135], v[136:137], s[12:13]
	v_fmac_f64_e32 v[138:139], s[12:13], v[132:133]
	v_mul_f64 v[140:141], v[148:149], s[6:7]
	v_mul_f64 v[132:133], v[132:133], -0.5
	v_fmac_f64_e32 v[154:155], 0.5, v[106:107]
	v_fmac_f64_e32 v[156:157], s[6:7], v[114:115]
	v_fmac_f64_e32 v[134:135], 0.5, v[148:149]
	v_fmac_f64_e32 v[140:141], 0.5, v[136:137]
	v_fmac_f64_e32 v[132:133], s[6:7], v[166:167]
	v_add_f64 v[108:109], v[124:125], v[120:121]
	v_add_f64 v[112:113], v[220:221], v[152:153]
	;; [unrolled: 1-line block ×4, first 2 shown]
	v_add_f64 v[120:121], v[124:125], -v[120:121]
	v_add_f64 v[124:125], v[220:221], -v[152:153]
	;; [unrolled: 1-line block ×4, first 2 shown]
	v_add_f64 v[232:233], v[128:129], v[142:143]
	v_add_f64 v[220:221], v[150:151], v[134:135]
	;; [unrolled: 1-line block ×6, first 2 shown]
	v_add_f64 v[228:229], v[128:129], -v[142:143]
	v_add_f64 v[236:237], v[150:151], -v[134:135]
	;; [unrolled: 1-line block ×6, first 2 shown]
	ds_write_b128 v164, v[248:251]
	ds_write_b128 v164, v[244:247] offset:5760
	ds_write_b128 v164, v[252:255] offset:11520
	;; [unrolled: 1-line block ×35, first 2 shown]
	v_accvgpr_read_b32 v24, a2
	v_lshlrev_b32_e32 v40, 4, v24
	v_add_co_u32_e64 v36, s[0:1], s4, v40
	v_mov_b32_e32 v24, s5
	s_waitcnt lgkmcnt(0)
	; wave barrier
	s_waitcnt lgkmcnt(0)
	v_addc_co_u32_e64 v37, s[0:1], 0, v24, s[0:1]
	global_load_dwordx4 v[24:27], v40, s[4:5]
	ds_read_b128 v[20:23], v164
	v_add_co_u32_e64 v34, s[0:1], s15, v36
	v_addc_co_u32_e64 v35, s[0:1], 0, v37, s[0:1]
	v_add_co_u32_e64 v32, s[0:1], s16, v36
	v_addc_co_u32_e64 v33, s[0:1], 0, v37, s[0:1]
	s_waitcnt vmcnt(0) lgkmcnt(0)
	v_mul_f64 v[28:29], v[22:23], v[26:27]
	v_mul_f64 v[30:31], v[20:21], v[26:27]
	v_fma_f64 v[28:29], v[20:21], v[24:25], -v[28:29]
	v_fmac_f64_e32 v[30:31], v[22:23], v[24:25]
	global_load_dwordx4 v[24:27], v40, s[4:5] offset:3456
	ds_read_b128 v[20:23], v164 offset:3456
	ds_write_b128 v164, v[28:31]
	s_waitcnt vmcnt(0) lgkmcnt(1)
	v_mul_f64 v[28:29], v[22:23], v[26:27]
	v_mul_f64 v[30:31], v[20:21], v[26:27]
	v_fma_f64 v[28:29], v[20:21], v[24:25], -v[28:29]
	v_fmac_f64_e32 v[30:31], v[22:23], v[24:25]
	global_load_dwordx4 v[24:27], v[34:35], off offset:2816
	ds_read_b128 v[20:23], v164 offset:6912
	ds_write_b128 v164, v[28:31] offset:3456
	s_waitcnt vmcnt(0) lgkmcnt(1)
	v_mul_f64 v[28:29], v[22:23], v[26:27]
	v_mul_f64 v[30:31], v[20:21], v[26:27]
	v_fma_f64 v[28:29], v[20:21], v[24:25], -v[28:29]
	v_fmac_f64_e32 v[30:31], v[22:23], v[24:25]
	global_load_dwordx4 v[24:27], v[32:33], off offset:2176
	ds_read_b128 v[20:23], v164 offset:10368
	ds_write_b128 v164, v[28:31] offset:6912
	s_waitcnt vmcnt(0) lgkmcnt(1)
	v_mul_f64 v[28:29], v[22:23], v[26:27]
	v_mul_f64 v[30:31], v[20:21], v[26:27]
	v_fma_f64 v[28:29], v[20:21], v[24:25], -v[28:29]
	v_fmac_f64_e32 v[30:31], v[22:23], v[24:25]
	ds_write_b128 v164, v[28:31] offset:10368
	v_add_co_u32_e64 v30, s[0:1], s17, v36
	v_addc_co_u32_e64 v31, s[0:1], 0, v37, s[0:1]
	global_load_dwordx4 v[24:27], v[30:31], off offset:1536
	ds_read_b128 v[20:23], v164 offset:13824
	s_waitcnt vmcnt(0) lgkmcnt(0)
	v_mul_f64 v[28:29], v[22:23], v[26:27]
	v_fma_f64 v[42:43], v[20:21], v[24:25], -v[28:29]
	v_add_co_u32_e64 v28, s[0:1], s18, v36
	v_mul_f64 v[44:45], v[20:21], v[26:27]
	v_addc_co_u32_e64 v29, s[0:1], 0, v37, s[0:1]
	v_fmac_f64_e32 v[44:45], v[22:23], v[24:25]
	global_load_dwordx4 v[24:27], v[28:29], off offset:896
	ds_read_b128 v[20:23], v164 offset:17280
	s_movk_i32 s0, 0x5000
	ds_write_b128 v164, v[42:45] offset:13824
	s_waitcnt vmcnt(0) lgkmcnt(1)
	v_mul_f64 v[38:39], v[22:23], v[26:27]
	v_mul_f64 v[44:45], v[20:21], v[26:27]
	v_add_co_u32_e64 v26, s[0:1], s0, v36
	v_fma_f64 v[42:43], v[20:21], v[24:25], -v[38:39]
	v_fmac_f64_e32 v[44:45], v[22:23], v[24:25]
	v_addc_co_u32_e64 v27, s[0:1], 0, v37, s[0:1]
	ds_write_b128 v164, v[42:45] offset:17280
	global_load_dwordx4 v[42:45], v[26:27], off offset:256
	ds_read_b128 v[20:23], v164 offset:20736
	s_movk_i32 s0, 0x7000
	s_waitcnt vmcnt(0) lgkmcnt(0)
	v_mul_f64 v[24:25], v[22:23], v[44:45]
	v_mul_f64 v[48:49], v[20:21], v[44:45]
	v_fma_f64 v[46:47], v[20:21], v[42:43], -v[24:25]
	v_fmac_f64_e32 v[48:49], v[22:23], v[42:43]
	global_load_dwordx4 v[42:45], v[26:27], off offset:3712
	ds_read_b128 v[20:23], v164 offset:24192
	ds_write_b128 v164, v[46:49] offset:20736
	s_waitcnt vmcnt(0) lgkmcnt(1)
	v_mul_f64 v[24:25], v[22:23], v[44:45]
	v_fma_f64 v[46:47], v[20:21], v[42:43], -v[24:25]
	buffer_load_dword v24, off, s[24:27], 0 offset:384 ; 4-byte Folded Reload
	v_mul_f64 v[48:49], v[20:21], v[44:45]
	v_fmac_f64_e32 v[48:49], v[22:23], v[42:43]
	ds_read_b128 v[20:23], v164 offset:27648
	ds_write_b128 v164, v[46:49] offset:24192
	s_waitcnt vmcnt(0)
	global_load_dwordx4 v[42:45], v24, s[4:5]
	s_waitcnt vmcnt(0) lgkmcnt(1)
	v_mul_f64 v[24:25], v[22:23], v[44:45]
	v_fma_f64 v[46:47], v[20:21], v[42:43], -v[24:25]
	v_add_co_u32_e64 v24, s[0:1], s0, v36
	v_mul_f64 v[48:49], v[20:21], v[44:45]
	v_addc_co_u32_e64 v25, s[0:1], 0, v37, s[0:1]
	v_fmac_f64_e32 v[48:49], v[22:23], v[42:43]
	global_load_dwordx4 v[42:45], v[24:25], off offset:2432
	ds_read_b128 v[20:23], v164 offset:31104
	ds_write_b128 v164, v[46:49] offset:27648
	s_waitcnt vmcnt(0) lgkmcnt(1)
	v_mul_f64 v[38:39], v[22:23], v[44:45]
	v_mul_f64 v[48:49], v[20:21], v[44:45]
	v_fma_f64 v[46:47], v[20:21], v[42:43], -v[38:39]
	v_fmac_f64_e32 v[48:49], v[22:23], v[42:43]
	global_load_dwordx4 v[42:45], v40, s[4:5] offset:960
	ds_read_b128 v[20:23], v164 offset:960
	ds_write_b128 v164, v[46:49] offset:31104
	s_waitcnt vmcnt(0) lgkmcnt(1)
	v_mul_f64 v[38:39], v[22:23], v[44:45]
	v_mul_f64 v[48:49], v[20:21], v[44:45]
	v_fma_f64 v[46:47], v[20:21], v[42:43], -v[38:39]
	v_fmac_f64_e32 v[48:49], v[22:23], v[42:43]
	global_load_dwordx4 v[42:45], v[34:35], off offset:320
	ds_read_b128 v[20:23], v164 offset:4416
	ds_write_b128 v164, v[46:49] offset:960
	s_waitcnt vmcnt(0) lgkmcnt(1)
	v_mul_f64 v[38:39], v[22:23], v[44:45]
	v_mul_f64 v[48:49], v[20:21], v[44:45]
	v_fma_f64 v[46:47], v[20:21], v[42:43], -v[38:39]
	v_fmac_f64_e32 v[48:49], v[22:23], v[42:43]
	global_load_dwordx4 v[42:45], v[34:35], off offset:3776
	;; [unrolled: 8-line block ×6, first 2 shown]
	ds_read_b128 v[20:23], v164 offset:21696
	ds_write_b128 v164, v[46:49] offset:18240
	s_waitcnt vmcnt(0) lgkmcnt(1)
	v_mul_f64 v[38:39], v[22:23], v[44:45]
	v_fma_f64 v[46:47], v[20:21], v[42:43], -v[38:39]
	v_add_co_u32_e64 v38, s[0:1], s14, v36
	v_mul_f64 v[48:49], v[20:21], v[44:45]
	v_addc_co_u32_e64 v39, s[0:1], 0, v37, s[0:1]
	v_fmac_f64_e32 v[48:49], v[22:23], v[42:43]
	global_load_dwordx4 v[42:45], v[38:39], off offset:576
	ds_read_b128 v[20:23], v164 offset:25152
	ds_write_b128 v164, v[46:49] offset:21696
	s_mov_b32 s0, 0x8000
	s_waitcnt vmcnt(0) lgkmcnt(1)
	v_mul_f64 v[46:47], v[22:23], v[44:45]
	v_mul_f64 v[48:49], v[20:21], v[44:45]
	v_fma_f64 v[46:47], v[20:21], v[42:43], -v[46:47]
	v_fmac_f64_e32 v[48:49], v[22:23], v[42:43]
	global_load_dwordx4 v[42:45], v[38:39], off offset:4032
	ds_read_b128 v[20:23], v164 offset:28608
	ds_write_b128 v164, v[46:49] offset:25152
	s_waitcnt vmcnt(0) lgkmcnt(1)
	v_mul_f64 v[46:47], v[22:23], v[44:45]
	v_mul_f64 v[48:49], v[20:21], v[44:45]
	v_fma_f64 v[46:47], v[20:21], v[42:43], -v[46:47]
	v_fmac_f64_e32 v[48:49], v[22:23], v[42:43]
	global_load_dwordx4 v[42:45], v[24:25], off offset:3392
	ds_read_b128 v[20:23], v164 offset:32064
	ds_write_b128 v164, v[46:49] offset:28608
	s_waitcnt vmcnt(0) lgkmcnt(1)
	v_mul_f64 v[46:47], v[22:23], v[44:45]
	v_mul_f64 v[48:49], v[20:21], v[44:45]
	v_fma_f64 v[46:47], v[20:21], v[42:43], -v[46:47]
	v_fmac_f64_e32 v[48:49], v[22:23], v[42:43]
	global_load_dwordx4 v[40:43], v40, s[4:5] offset:1920
	ds_read_b128 v[20:23], v164 offset:1920
	ds_write_b128 v164, v[46:49] offset:32064
	s_waitcnt vmcnt(0) lgkmcnt(1)
	v_mul_f64 v[44:45], v[22:23], v[42:43]
	v_mul_f64 v[46:47], v[20:21], v[42:43]
	v_fma_f64 v[44:45], v[20:21], v[40:41], -v[44:45]
	v_fmac_f64_e32 v[46:47], v[22:23], v[40:41]
	global_load_dwordx4 v[40:43], v[34:35], off offset:1280
	ds_read_b128 v[20:23], v164 offset:5376
	ds_write_b128 v164, v[44:47] offset:1920
	s_waitcnt vmcnt(0) lgkmcnt(1)
	v_mul_f64 v[44:45], v[22:23], v[42:43]
	v_mul_f64 v[46:47], v[20:21], v[42:43]
	v_fma_f64 v[44:45], v[20:21], v[40:41], -v[44:45]
	v_fmac_f64_e32 v[46:47], v[22:23], v[40:41]
	global_load_dwordx4 v[40:43], v[32:33], off offset:640
	ds_read_b128 v[20:23], v164 offset:8832
	ds_write_b128 v164, v[44:47] offset:5376
	s_waitcnt vmcnt(0) lgkmcnt(1)
	v_mul_f64 v[44:45], v[22:23], v[42:43]
	v_mul_f64 v[46:47], v[20:21], v[42:43]
	v_fma_f64 v[44:45], v[20:21], v[40:41], -v[44:45]
	v_fmac_f64_e32 v[46:47], v[22:23], v[40:41]
	buffer_load_dword v40, off, s[24:27], 0 offset:388 ; 4-byte Folded Reload
	ds_read_b128 v[20:23], v164 offset:12288
	ds_write_b128 v164, v[44:47] offset:8832
	s_waitcnt vmcnt(0)
	global_load_dwordx4 v[40:43], v40, s[4:5]
	s_waitcnt vmcnt(0) lgkmcnt(1)
	v_mul_f64 v[44:45], v[22:23], v[42:43]
	v_mul_f64 v[46:47], v[20:21], v[42:43]
	v_fma_f64 v[44:45], v[20:21], v[40:41], -v[44:45]
	v_fmac_f64_e32 v[46:47], v[22:23], v[40:41]
	global_load_dwordx4 v[40:43], v[30:31], off offset:3456
	ds_read_b128 v[20:23], v164 offset:15744
	ds_write_b128 v164, v[44:47] offset:12288
	s_waitcnt vmcnt(0) lgkmcnt(1)
	v_mul_f64 v[44:45], v[22:23], v[42:43]
	v_mul_f64 v[46:47], v[20:21], v[42:43]
	v_fma_f64 v[44:45], v[20:21], v[40:41], -v[44:45]
	v_fmac_f64_e32 v[46:47], v[22:23], v[40:41]
	global_load_dwordx4 v[40:43], v[28:29], off offset:2816
	ds_read_b128 v[20:23], v164 offset:19200
	ds_write_b128 v164, v[44:47] offset:15744
	;; [unrolled: 8-line block ×5, first 2 shown]
	s_waitcnt vmcnt(0) lgkmcnt(1)
	v_mul_f64 v[44:45], v[22:23], v[42:43]
	v_mul_f64 v[46:47], v[20:21], v[42:43]
	v_fma_f64 v[44:45], v[20:21], v[40:41], -v[44:45]
	v_fmac_f64_e32 v[46:47], v[22:23], v[40:41]
	v_add_co_u32_e64 v40, s[0:1], s0, v36
	v_addc_co_u32_e64 v41, s[0:1], 0, v37, s[0:1]
	ds_write_b128 v164, v[44:47] offset:29568
	global_load_dwordx4 v[42:45], v[40:41], off offset:256
	ds_read_b128 v[20:23], v164 offset:33024
	s_waitcnt vmcnt(0) lgkmcnt(0)
	v_mul_f64 v[46:47], v[22:23], v[44:45]
	v_mul_f64 v[48:49], v[20:21], v[44:45]
	v_fma_f64 v[46:47], v[20:21], v[42:43], -v[46:47]
	v_fmac_f64_e32 v[48:49], v[22:23], v[42:43]
	ds_write_b128 v164, v[46:49] offset:33024
	s_and_saveexec_b64 s[0:1], vcc
	s_cbranch_execz .LBB0_9
; %bb.8:
	global_load_dwordx4 v[42:45], v[36:37], off offset:2880
	ds_read_b128 v[20:23], v164 offset:2880
	s_waitcnt vmcnt(0) lgkmcnt(0)
	v_mul_f64 v[36:37], v[22:23], v[44:45]
	v_fma_f64 v[46:47], v[20:21], v[42:43], -v[36:37]
	global_load_dwordx4 v[34:37], v[34:35], off offset:2240
	v_mul_f64 v[48:49], v[20:21], v[44:45]
	v_fmac_f64_e32 v[48:49], v[22:23], v[42:43]
	ds_read_b128 v[20:23], v164 offset:6336
	ds_write_b128 v164, v[46:49] offset:2880
	s_waitcnt vmcnt(0) lgkmcnt(1)
	v_mul_f64 v[42:43], v[22:23], v[36:37]
	v_mul_f64 v[44:45], v[20:21], v[36:37]
	v_fma_f64 v[42:43], v[20:21], v[34:35], -v[42:43]
	v_fmac_f64_e32 v[44:45], v[22:23], v[34:35]
	global_load_dwordx4 v[32:35], v[32:33], off offset:1600
	ds_read_b128 v[20:23], v164 offset:9792
	ds_write_b128 v164, v[42:45] offset:6336
	s_waitcnt vmcnt(0) lgkmcnt(1)
	v_mul_f64 v[36:37], v[22:23], v[34:35]
	v_mul_f64 v[44:45], v[20:21], v[34:35]
	v_fma_f64 v[42:43], v[20:21], v[32:33], -v[36:37]
	v_fmac_f64_e32 v[44:45], v[22:23], v[32:33]
	global_load_dwordx4 v[30:33], v[30:31], off offset:960
	ds_read_b128 v[20:23], v164 offset:13248
	ds_write_b128 v164, v[42:45] offset:9792
	s_waitcnt vmcnt(0) lgkmcnt(1)
	v_mul_f64 v[34:35], v[22:23], v[32:33]
	v_mul_f64 v[36:37], v[20:21], v[32:33]
	v_fma_f64 v[34:35], v[20:21], v[30:31], -v[34:35]
	v_fmac_f64_e32 v[36:37], v[22:23], v[30:31]
	global_load_dwordx4 v[30:33], v[28:29], off offset:320
	ds_read_b128 v[20:23], v164 offset:16704
	ds_write_b128 v164, v[34:37] offset:13248
	s_waitcnt vmcnt(0) lgkmcnt(1)
	v_mul_f64 v[34:35], v[22:23], v[32:33]
	v_mul_f64 v[36:37], v[20:21], v[32:33]
	v_fma_f64 v[34:35], v[20:21], v[30:31], -v[34:35]
	v_fmac_f64_e32 v[36:37], v[22:23], v[30:31]
	global_load_dwordx4 v[28:31], v[28:29], off offset:3776
	ds_read_b128 v[20:23], v164 offset:20160
	ds_write_b128 v164, v[34:37] offset:16704
	s_waitcnt vmcnt(0) lgkmcnt(1)
	v_mul_f64 v[32:33], v[22:23], v[30:31]
	v_mul_f64 v[34:35], v[20:21], v[30:31]
	v_fma_f64 v[32:33], v[20:21], v[28:29], -v[32:33]
	v_fmac_f64_e32 v[34:35], v[22:23], v[28:29]
	global_load_dwordx4 v[26:29], v[26:27], off offset:3136
	ds_read_b128 v[20:23], v164 offset:23616
	ds_write_b128 v164, v[32:35] offset:20160
	s_waitcnt vmcnt(0) lgkmcnt(1)
	v_mul_f64 v[30:31], v[22:23], v[28:29]
	v_mul_f64 v[32:33], v[20:21], v[28:29]
	v_fma_f64 v[30:31], v[20:21], v[26:27], -v[30:31]
	v_fmac_f64_e32 v[32:33], v[22:23], v[26:27]
	global_load_dwordx4 v[26:29], v[38:39], off offset:2496
	ds_read_b128 v[20:23], v164 offset:27072
	ds_write_b128 v164, v[30:33] offset:23616
	s_waitcnt vmcnt(0) lgkmcnt(1)
	v_mul_f64 v[30:31], v[22:23], v[28:29]
	v_mul_f64 v[32:33], v[20:21], v[28:29]
	v_fma_f64 v[30:31], v[20:21], v[26:27], -v[30:31]
	v_fmac_f64_e32 v[32:33], v[22:23], v[26:27]
	global_load_dwordx4 v[24:27], v[24:25], off offset:1856
	ds_read_b128 v[20:23], v164 offset:30528
	ds_write_b128 v164, v[30:33] offset:27072
	s_waitcnt vmcnt(0) lgkmcnt(1)
	v_mul_f64 v[28:29], v[22:23], v[26:27]
	v_mul_f64 v[30:31], v[20:21], v[26:27]
	v_fma_f64 v[28:29], v[20:21], v[24:25], -v[28:29]
	v_fmac_f64_e32 v[30:31], v[22:23], v[24:25]
	global_load_dwordx4 v[24:27], v[40:41], off offset:1216
	ds_read_b128 v[20:23], v164 offset:33984
	ds_write_b128 v164, v[28:31] offset:30528
	s_waitcnt vmcnt(0) lgkmcnt(1)
	v_mul_f64 v[28:29], v[22:23], v[26:27]
	v_mul_f64 v[30:31], v[20:21], v[26:27]
	v_fma_f64 v[28:29], v[20:21], v[24:25], -v[28:29]
	v_fmac_f64_e32 v[30:31], v[22:23], v[24:25]
	ds_write_b128 v164, v[28:31] offset:33984
.LBB0_9:
	s_or_b64 exec, exec, s[0:1]
	s_waitcnt lgkmcnt(0)
	; wave barrier
	s_waitcnt lgkmcnt(0)
	ds_read_b128 v[88:91], v164 offset:3456
	ds_read_b128 v[52:55], v164 offset:4416
	;; [unrolled: 1-line block ×28, first 2 shown]
	ds_read_b128 v[92:95], v164
	ds_read_b128 v[252:255], v164 offset:33024
	s_and_saveexec_b64 s[0:1], vcc
	s_cbranch_execz .LBB0_11
; %bb.10:
	ds_read_b128 v[220:223], v164 offset:6336
	ds_read_b128 v[224:227], v164 offset:9792
	;; [unrolled: 1-line block ×10, first 2 shown]
.LBB0_11:
	s_or_b64 exec, exec, s[0:1]
	s_waitcnt lgkmcnt(9)
	v_add_f64 v[130:131], v[116:117], v[120:121]
	s_mov_b32 s0, 0x134454ff
	s_waitcnt lgkmcnt(1)
	v_fma_f64 v[130:131], -0.5, v[130:131], v[92:93]
	v_add_f64 v[132:133], v[114:115], -v[126:127]
	s_mov_b32 s1, 0xbfee6f0e
	s_mov_b32 s4, 0x4755a5e
	;; [unrolled: 1-line block ×4, first 2 shown]
	v_fma_f64 v[134:135], s[0:1], v[132:133], v[130:131]
	v_add_f64 v[136:137], v[118:119], -v[122:123]
	s_mov_b32 s5, 0xbfe2cf23
	v_add_f64 v[138:139], v[112:113], -v[116:117]
	v_add_f64 v[140:141], v[124:125], -v[120:121]
	s_mov_b32 s6, 0x372fe950
	v_fmac_f64_e32 v[130:131], s[12:13], v[132:133]
	s_mov_b32 s15, 0x3fe2cf23
	s_mov_b32 s14, s4
	v_fmac_f64_e32 v[134:135], s[4:5], v[136:137]
	v_add_f64 v[138:139], v[138:139], v[140:141]
	s_mov_b32 s7, 0x3fd3c6ef
	v_fmac_f64_e32 v[130:131], s[14:15], v[136:137]
	v_fmac_f64_e32 v[134:135], s[6:7], v[138:139]
	;; [unrolled: 1-line block ×3, first 2 shown]
	v_add_f64 v[138:139], v[112:113], v[124:125]
	v_add_f64 v[128:129], v[92:93], v[112:113]
	v_fmac_f64_e32 v[92:93], -0.5, v[138:139]
	v_add_f64 v[128:129], v[128:129], v[116:117]
	v_fma_f64 v[138:139], s[12:13], v[136:137], v[92:93]
	v_add_f64 v[140:141], v[116:117], -v[112:113]
	v_add_f64 v[142:143], v[120:121], -v[124:125]
	v_fmac_f64_e32 v[92:93], s[0:1], v[136:137]
	v_add_f64 v[136:137], v[118:119], v[122:123]
	v_add_f64 v[128:129], v[128:129], v[120:121]
	v_fmac_f64_e32 v[138:139], s[4:5], v[132:133]
	v_add_f64 v[140:141], v[140:141], v[142:143]
	v_fmac_f64_e32 v[92:93], s[14:15], v[132:133]
	v_fma_f64 v[136:137], -0.5, v[136:137], v[94:95]
	v_add_f64 v[112:113], v[112:113], -v[124:125]
	v_add_f64 v[128:129], v[128:129], v[124:125]
	v_fmac_f64_e32 v[138:139], s[6:7], v[140:141]
	v_fmac_f64_e32 v[92:93], s[6:7], v[140:141]
	v_fma_f64 v[140:141], s[12:13], v[112:113], v[136:137]
	v_add_f64 v[116:117], v[116:117], -v[120:121]
	v_add_f64 v[120:121], v[114:115], -v[118:119]
	;; [unrolled: 1-line block ×3, first 2 shown]
	v_fmac_f64_e32 v[136:137], s[0:1], v[112:113]
	v_fmac_f64_e32 v[140:141], s[14:15], v[116:117]
	v_add_f64 v[120:121], v[120:121], v[124:125]
	v_fmac_f64_e32 v[136:137], s[4:5], v[116:117]
	v_fmac_f64_e32 v[140:141], s[6:7], v[120:121]
	;; [unrolled: 1-line block ×3, first 2 shown]
	v_add_f64 v[120:121], v[114:115], v[126:127]
	v_add_f64 v[132:133], v[94:95], v[114:115]
	v_fmac_f64_e32 v[94:95], -0.5, v[120:121]
	v_fma_f64 v[142:143], s[0:1], v[116:117], v[94:95]
	v_fmac_f64_e32 v[94:95], s[12:13], v[116:117]
	v_fmac_f64_e32 v[142:143], s[14:15], v[112:113]
	v_fmac_f64_e32 v[94:95], s[4:5], v[112:113]
	v_add_f64 v[112:113], v[88:89], v[96:97]
	v_add_f64 v[112:113], v[112:113], v[100:101]
	;; [unrolled: 1-line block ×3, first 2 shown]
	v_add_f64 v[114:115], v[118:119], -v[114:115]
	v_add_f64 v[118:119], v[122:123], -v[126:127]
	v_add_f64 v[112:113], v[112:113], v[104:105]
	v_add_f64 v[114:115], v[114:115], v[118:119]
	;; [unrolled: 1-line block ×4, first 2 shown]
	v_fmac_f64_e32 v[142:143], s[6:7], v[114:115]
	v_fmac_f64_e32 v[94:95], s[6:7], v[114:115]
	v_fma_f64 v[114:115], -0.5, v[112:113], v[88:89]
	v_add_f64 v[112:113], v[98:99], -v[110:111]
	v_add_f64 v[132:133], v[132:133], v[122:123]
	v_fma_f64 v[118:119], s[0:1], v[112:113], v[114:115]
	v_add_f64 v[120:121], v[102:103], -v[106:107]
	v_add_f64 v[122:123], v[96:97], -v[100:101]
	;; [unrolled: 1-line block ×3, first 2 shown]
	v_fmac_f64_e32 v[114:115], s[12:13], v[112:113]
	v_fmac_f64_e32 v[118:119], s[4:5], v[120:121]
	v_add_f64 v[122:123], v[122:123], v[124:125]
	v_fmac_f64_e32 v[114:115], s[14:15], v[120:121]
	v_fmac_f64_e32 v[118:119], s[6:7], v[122:123]
	v_fmac_f64_e32 v[114:115], s[6:7], v[122:123]
	v_add_f64 v[122:123], v[96:97], v[108:109]
	v_fmac_f64_e32 v[88:89], -0.5, v[122:123]
	v_fma_f64 v[122:123], s[12:13], v[120:121], v[88:89]
	v_fmac_f64_e32 v[88:89], s[0:1], v[120:121]
	v_fmac_f64_e32 v[122:123], s[4:5], v[112:113]
	;; [unrolled: 1-line block ×3, first 2 shown]
	v_add_f64 v[112:113], v[90:91], v[98:99]
	v_add_f64 v[112:113], v[112:113], v[102:103]
	;; [unrolled: 1-line block ×3, first 2 shown]
	v_add_f64 v[124:125], v[100:101], -v[96:97]
	v_add_f64 v[126:127], v[104:105], -v[108:109]
	v_add_f64 v[112:113], v[112:113], v[106:107]
	v_add_f64 v[124:125], v[124:125], v[126:127]
	;; [unrolled: 1-line block ×4, first 2 shown]
	v_fma_f64 v[120:121], -0.5, v[112:113], v[90:91]
	v_add_f64 v[96:97], v[96:97], -v[108:109]
	v_fmac_f64_e32 v[122:123], s[6:7], v[124:125]
	v_fmac_f64_e32 v[88:89], s[6:7], v[124:125]
	v_fma_f64 v[124:125], s[12:13], v[96:97], v[120:121]
	v_add_f64 v[100:101], v[100:101], -v[104:105]
	v_add_f64 v[104:105], v[98:99], -v[102:103]
	;; [unrolled: 1-line block ×3, first 2 shown]
	v_fmac_f64_e32 v[120:121], s[0:1], v[96:97]
	v_fmac_f64_e32 v[124:125], s[14:15], v[100:101]
	v_add_f64 v[104:105], v[104:105], v[108:109]
	v_fmac_f64_e32 v[120:121], s[4:5], v[100:101]
	v_fmac_f64_e32 v[124:125], s[6:7], v[104:105]
	;; [unrolled: 1-line block ×3, first 2 shown]
	v_add_f64 v[104:105], v[98:99], v[110:111]
	v_fmac_f64_e32 v[90:91], -0.5, v[104:105]
	v_fma_f64 v[144:145], s[0:1], v[100:101], v[90:91]
	v_add_f64 v[98:99], v[102:103], -v[98:99]
	v_add_f64 v[102:103], v[106:107], -v[110:111]
	v_fmac_f64_e32 v[90:91], s[12:13], v[100:101]
	v_add_f64 v[98:99], v[98:99], v[102:103]
	v_fmac_f64_e32 v[90:91], s[4:5], v[96:97]
	s_mov_b32 s16, 0x9b97f4a8
	v_fmac_f64_e32 v[144:145], s[14:15], v[96:97]
	v_fmac_f64_e32 v[90:91], s[6:7], v[98:99]
	s_mov_b32 s17, 0x3fe9e377
	s_mov_b32 s19, 0xbfd3c6ef
	;; [unrolled: 1-line block ×3, first 2 shown]
	v_mul_f64 v[152:153], v[120:121], s[4:5]
	s_mov_b32 s21, 0xbfe9e377
	s_mov_b32 s20, s16
	v_fmac_f64_e32 v[144:145], s[6:7], v[98:99]
	v_mul_f64 v[146:147], v[124:125], s[4:5]
	v_mul_f64 v[150:151], v[90:91], s[0:1]
	v_fmac_f64_e32 v[152:153], s[20:21], v[114:115]
	v_mul_f64 v[90:91], v[90:91], s[18:19]
	v_fmac_f64_e32 v[146:147], s[16:17], v[118:119]
	;; [unrolled: 2-line block ×3, first 2 shown]
	v_add_f64 v[112:113], v[130:131], v[152:153]
	v_mul_f64 v[118:119], v[118:119], s[14:15]
	v_fmac_f64_e32 v[90:91], s[12:13], v[88:89]
	v_mul_f64 v[154:155], v[120:121], s[20:21]
	v_add_f64 v[88:89], v[130:131], -v[152:153]
	v_add_f64 v[130:131], v[76:77], v[80:81]
	v_fmac_f64_e32 v[148:149], s[6:7], v[122:123]
	v_add_f64 v[98:99], v[132:133], v[126:127]
	v_fmac_f64_e32 v[118:119], s[16:17], v[124:125]
	v_mul_f64 v[144:145], v[144:145], s[6:7]
	v_fmac_f64_e32 v[154:155], s[14:15], v[114:115]
	v_add_f64 v[126:127], v[132:133], -v[126:127]
	v_fma_f64 v[130:131], -0.5, v[130:131], v[48:49]
	v_add_f64 v[132:133], v[74:75], -v[86:87]
	v_add_f64 v[96:97], v[128:129], v[116:117]
	v_add_f64 v[100:101], v[134:135], v[146:147]
	;; [unrolled: 1-line block ×4, first 2 shown]
	v_fmac_f64_e32 v[144:145], s[12:13], v[122:123]
	v_add_f64 v[110:111], v[94:95], v[90:91]
	v_add_f64 v[114:115], v[136:137], v[154:155]
	v_add_f64 v[124:125], v[128:129], -v[116:117]
	v_add_f64 v[120:121], v[134:135], -v[146:147]
	;; [unrolled: 1-line block ×6, first 2 shown]
	v_fma_f64 v[134:135], s[0:1], v[132:133], v[130:131]
	v_add_f64 v[136:137], v[78:79], -v[82:83]
	v_add_f64 v[138:139], v[72:73], -v[76:77]
	;; [unrolled: 1-line block ×3, first 2 shown]
	v_fmac_f64_e32 v[130:131], s[12:13], v[132:133]
	v_fmac_f64_e32 v[134:135], s[4:5], v[136:137]
	v_add_f64 v[138:139], v[138:139], v[140:141]
	v_fmac_f64_e32 v[130:131], s[14:15], v[136:137]
	v_fmac_f64_e32 v[134:135], s[6:7], v[138:139]
	;; [unrolled: 1-line block ×3, first 2 shown]
	v_add_f64 v[138:139], v[72:73], v[84:85]
	v_add_f64 v[128:129], v[48:49], v[72:73]
	v_fmac_f64_e32 v[48:49], -0.5, v[138:139]
	v_add_f64 v[106:107], v[142:143], v[144:145]
	v_add_f64 v[118:119], v[142:143], -v[144:145]
	v_add_f64 v[128:129], v[128:129], v[76:77]
	v_fma_f64 v[138:139], s[12:13], v[136:137], v[48:49]
	v_add_f64 v[140:141], v[76:77], -v[72:73]
	v_add_f64 v[142:143], v[80:81], -v[84:85]
	v_fmac_f64_e32 v[48:49], s[0:1], v[136:137]
	v_add_f64 v[136:137], v[78:79], v[82:83]
	v_add_f64 v[128:129], v[128:129], v[80:81]
	v_fmac_f64_e32 v[138:139], s[4:5], v[132:133]
	v_add_f64 v[140:141], v[140:141], v[142:143]
	v_fmac_f64_e32 v[48:49], s[14:15], v[132:133]
	v_fma_f64 v[136:137], -0.5, v[136:137], v[50:51]
	v_add_f64 v[72:73], v[72:73], -v[84:85]
	v_add_f64 v[128:129], v[128:129], v[84:85]
	v_fmac_f64_e32 v[138:139], s[6:7], v[140:141]
	v_fmac_f64_e32 v[48:49], s[6:7], v[140:141]
	v_fma_f64 v[140:141], s[12:13], v[72:73], v[136:137]
	v_add_f64 v[76:77], v[76:77], -v[80:81]
	v_add_f64 v[80:81], v[74:75], -v[78:79]
	;; [unrolled: 1-line block ×3, first 2 shown]
	v_fmac_f64_e32 v[136:137], s[0:1], v[72:73]
	v_fmac_f64_e32 v[140:141], s[14:15], v[76:77]
	v_add_f64 v[80:81], v[80:81], v[84:85]
	v_fmac_f64_e32 v[136:137], s[4:5], v[76:77]
	v_fmac_f64_e32 v[140:141], s[6:7], v[80:81]
	;; [unrolled: 1-line block ×3, first 2 shown]
	v_add_f64 v[80:81], v[74:75], v[86:87]
	v_add_f64 v[132:133], v[50:51], v[74:75]
	v_fmac_f64_e32 v[50:51], -0.5, v[80:81]
	v_fma_f64 v[142:143], s[0:1], v[76:77], v[50:51]
	v_fmac_f64_e32 v[50:51], s[12:13], v[76:77]
	v_fmac_f64_e32 v[142:143], s[14:15], v[72:73]
	;; [unrolled: 1-line block ×3, first 2 shown]
	v_add_f64 v[72:73], v[52:53], v[56:57]
	v_add_f64 v[72:73], v[72:73], v[60:61]
	;; [unrolled: 1-line block ×3, first 2 shown]
	v_add_f64 v[74:75], v[78:79], -v[74:75]
	v_add_f64 v[78:79], v[82:83], -v[86:87]
	v_add_f64 v[72:73], v[72:73], v[64:65]
	v_add_f64 v[74:75], v[74:75], v[78:79]
	;; [unrolled: 1-line block ×4, first 2 shown]
	v_fmac_f64_e32 v[142:143], s[6:7], v[74:75]
	v_fmac_f64_e32 v[50:51], s[6:7], v[74:75]
	v_fma_f64 v[74:75], -0.5, v[72:73], v[52:53]
	v_add_f64 v[72:73], v[58:59], -v[70:71]
	v_add_f64 v[132:133], v[132:133], v[82:83]
	v_fma_f64 v[78:79], s[0:1], v[72:73], v[74:75]
	v_add_f64 v[80:81], v[62:63], -v[66:67]
	v_add_f64 v[82:83], v[56:57], -v[60:61]
	;; [unrolled: 1-line block ×3, first 2 shown]
	v_fmac_f64_e32 v[74:75], s[12:13], v[72:73]
	v_fmac_f64_e32 v[78:79], s[4:5], v[80:81]
	v_add_f64 v[82:83], v[82:83], v[84:85]
	v_fmac_f64_e32 v[74:75], s[14:15], v[80:81]
	v_fmac_f64_e32 v[78:79], s[6:7], v[82:83]
	;; [unrolled: 1-line block ×3, first 2 shown]
	v_add_f64 v[82:83], v[56:57], v[68:69]
	v_fmac_f64_e32 v[52:53], -0.5, v[82:83]
	v_fma_f64 v[82:83], s[12:13], v[80:81], v[52:53]
	v_fmac_f64_e32 v[52:53], s[0:1], v[80:81]
	v_fmac_f64_e32 v[82:83], s[4:5], v[72:73]
	;; [unrolled: 1-line block ×3, first 2 shown]
	v_add_f64 v[72:73], v[54:55], v[58:59]
	v_add_f64 v[72:73], v[72:73], v[62:63]
	;; [unrolled: 1-line block ×3, first 2 shown]
	v_add_f64 v[84:85], v[60:61], -v[56:57]
	v_add_f64 v[86:87], v[64:65], -v[68:69]
	v_add_f64 v[72:73], v[72:73], v[66:67]
	v_add_f64 v[84:85], v[84:85], v[86:87]
	;; [unrolled: 1-line block ×4, first 2 shown]
	v_fma_f64 v[80:81], -0.5, v[72:73], v[54:55]
	v_add_f64 v[56:57], v[56:57], -v[68:69]
	v_fmac_f64_e32 v[82:83], s[6:7], v[84:85]
	v_fmac_f64_e32 v[52:53], s[6:7], v[84:85]
	v_fma_f64 v[84:85], s[12:13], v[56:57], v[80:81]
	v_add_f64 v[60:61], v[60:61], -v[64:65]
	v_add_f64 v[64:65], v[58:59], -v[62:63]
	;; [unrolled: 1-line block ×3, first 2 shown]
	v_fmac_f64_e32 v[80:81], s[0:1], v[56:57]
	v_fmac_f64_e32 v[84:85], s[14:15], v[60:61]
	v_add_f64 v[64:65], v[64:65], v[68:69]
	v_fmac_f64_e32 v[80:81], s[4:5], v[60:61]
	v_fmac_f64_e32 v[84:85], s[6:7], v[64:65]
	;; [unrolled: 1-line block ×3, first 2 shown]
	v_add_f64 v[64:65], v[58:59], v[70:71]
	v_fmac_f64_e32 v[54:55], -0.5, v[64:65]
	v_fma_f64 v[144:145], s[0:1], v[60:61], v[54:55]
	v_add_f64 v[58:59], v[62:63], -v[58:59]
	v_add_f64 v[62:63], v[66:67], -v[70:71]
	v_fmac_f64_e32 v[54:55], s[12:13], v[60:61]
	v_add_f64 v[58:59], v[58:59], v[62:63]
	v_fmac_f64_e32 v[54:55], s[4:5], v[56:57]
	v_fmac_f64_e32 v[54:55], s[6:7], v[58:59]
	v_add_f64 v[108:109], v[92:93], v[150:151]
	v_add_f64 v[92:93], v[92:93], -v[150:151]
	v_fmac_f64_e32 v[144:145], s[14:15], v[56:57]
	v_mul_f64 v[150:151], v[54:55], s[0:1]
	v_mul_f64 v[152:153], v[80:81], s[4:5]
	v_fmac_f64_e32 v[144:145], s[6:7], v[58:59]
	v_mul_f64 v[146:147], v[84:85], s[4:5]
	v_fmac_f64_e32 v[150:151], s[18:19], v[52:53]
	v_fmac_f64_e32 v[152:153], s[20:21], v[74:75]
	v_mul_f64 v[54:55], v[54:55], s[18:19]
	v_fmac_f64_e32 v[146:147], s[16:17], v[78:79]
	v_mul_f64 v[148:149], v[144:145], s[0:1]
	v_add_f64 v[68:69], v[48:49], v[150:151]
	v_add_f64 v[72:73], v[130:131], v[152:153]
	v_mul_f64 v[78:79], v[78:79], s[14:15]
	v_fmac_f64_e32 v[54:55], s[12:13], v[52:53]
	v_mul_f64 v[154:155], v[80:81], s[20:21]
	v_add_f64 v[52:53], v[48:49], -v[150:151]
	v_add_f64 v[48:49], v[130:131], -v[152:153]
	v_add_f64 v[130:131], v[36:37], v[40:41]
	v_fmac_f64_e32 v[148:149], s[6:7], v[82:83]
	v_add_f64 v[58:59], v[132:133], v[86:87]
	v_fmac_f64_e32 v[78:79], s[16:17], v[84:85]
	v_mul_f64 v[144:145], v[144:145], s[6:7]
	v_fmac_f64_e32 v[154:155], s[14:15], v[74:75]
	v_add_f64 v[86:87], v[132:133], -v[86:87]
	v_fma_f64 v[130:131], -0.5, v[130:131], v[20:21]
	v_add_f64 v[132:133], v[34:35], -v[46:47]
	v_add_f64 v[56:57], v[128:129], v[76:77]
	v_add_f64 v[60:61], v[134:135], v[146:147]
	;; [unrolled: 1-line block ×4, first 2 shown]
	v_fmac_f64_e32 v[144:145], s[12:13], v[82:83]
	v_add_f64 v[70:71], v[50:51], v[54:55]
	v_add_f64 v[74:75], v[136:137], v[154:155]
	v_add_f64 v[84:85], v[128:129], -v[76:77]
	v_add_f64 v[80:81], v[134:135], -v[146:147]
	;; [unrolled: 1-line block ×6, first 2 shown]
	v_fma_f64 v[134:135], s[0:1], v[132:133], v[130:131]
	v_add_f64 v[136:137], v[38:39], -v[42:43]
	v_add_f64 v[138:139], v[32:33], -v[36:37]
	;; [unrolled: 1-line block ×3, first 2 shown]
	v_fmac_f64_e32 v[130:131], s[12:13], v[132:133]
	v_fmac_f64_e32 v[134:135], s[4:5], v[136:137]
	v_add_f64 v[138:139], v[138:139], v[140:141]
	v_fmac_f64_e32 v[130:131], s[14:15], v[136:137]
	v_fmac_f64_e32 v[134:135], s[6:7], v[138:139]
	;; [unrolled: 1-line block ×3, first 2 shown]
	v_add_f64 v[138:139], v[32:33], v[44:45]
	v_add_f64 v[128:129], v[20:21], v[32:33]
	v_fmac_f64_e32 v[20:21], -0.5, v[138:139]
	v_fma_f64 v[138:139], s[12:13], v[136:137], v[20:21]
	v_fmac_f64_e32 v[20:21], s[0:1], v[136:137]
	v_fmac_f64_e32 v[138:139], s[4:5], v[132:133]
	v_fmac_f64_e32 v[20:21], s[14:15], v[132:133]
	v_add_f64 v[132:133], v[22:23], v[34:35]
	v_add_f64 v[66:67], v[142:143], v[144:145]
	v_add_f64 v[78:79], v[142:143], -v[144:145]
	v_add_f64 v[140:141], v[36:37], -v[32:33]
	;; [unrolled: 1-line block ×3, first 2 shown]
	v_add_f64 v[132:133], v[132:133], v[38:39]
	v_add_f64 v[140:141], v[140:141], v[142:143]
	;; [unrolled: 1-line block ×4, first 2 shown]
	v_fmac_f64_e32 v[138:139], s[6:7], v[140:141]
	v_fmac_f64_e32 v[20:21], s[6:7], v[140:141]
	v_add_f64 v[140:141], v[132:133], v[46:47]
	v_add_f64 v[132:133], v[38:39], v[42:43]
	;; [unrolled: 1-line block ×3, first 2 shown]
	v_fma_f64 v[142:143], -0.5, v[132:133], v[22:23]
	v_add_f64 v[32:33], v[32:33], -v[44:45]
	v_add_f64 v[128:129], v[128:129], v[44:45]
	v_fma_f64 v[144:145], s[12:13], v[32:33], v[142:143]
	v_add_f64 v[36:37], v[36:37], -v[40:41]
	v_add_f64 v[40:41], v[34:35], -v[38:39]
	;; [unrolled: 1-line block ×3, first 2 shown]
	v_fmac_f64_e32 v[142:143], s[0:1], v[32:33]
	v_fmac_f64_e32 v[144:145], s[14:15], v[36:37]
	v_add_f64 v[40:41], v[40:41], v[44:45]
	v_fmac_f64_e32 v[142:143], s[4:5], v[36:37]
	v_fmac_f64_e32 v[144:145], s[6:7], v[40:41]
	;; [unrolled: 1-line block ×3, first 2 shown]
	v_add_f64 v[40:41], v[34:35], v[46:47]
	v_fmac_f64_e32 v[22:23], -0.5, v[40:41]
	v_fma_f64 v[146:147], s[0:1], v[36:37], v[22:23]
	v_fmac_f64_e32 v[22:23], s[12:13], v[36:37]
	v_fmac_f64_e32 v[146:147], s[14:15], v[32:33]
	;; [unrolled: 1-line block ×3, first 2 shown]
	v_add_f64 v[32:33], v[24:25], v[28:29]
	v_add_f64 v[32:33], v[32:33], v[244:245]
	;; [unrolled: 1-line block ×3, first 2 shown]
	v_add_f64 v[34:35], v[38:39], -v[34:35]
	v_add_f64 v[38:39], v[42:43], -v[46:47]
	s_waitcnt lgkmcnt(0)
	v_add_f64 v[132:133], v[32:33], v[252:253]
	v_add_f64 v[32:33], v[244:245], v[248:249]
	;; [unrolled: 1-line block ×3, first 2 shown]
	v_fma_f64 v[46:47], -0.5, v[32:33], v[24:25]
	v_add_f64 v[32:33], v[30:31], -v[254:255]
	v_fmac_f64_e32 v[146:147], s[6:7], v[34:35]
	v_fmac_f64_e32 v[22:23], s[6:7], v[34:35]
	v_fma_f64 v[34:35], s[0:1], v[32:33], v[46:47]
	v_add_f64 v[36:37], v[246:247], -v[250:251]
	v_add_f64 v[38:39], v[28:29], -v[244:245]
	;; [unrolled: 1-line block ×3, first 2 shown]
	v_fmac_f64_e32 v[46:47], s[12:13], v[32:33]
	v_fmac_f64_e32 v[34:35], s[4:5], v[36:37]
	v_add_f64 v[38:39], v[38:39], v[40:41]
	v_fmac_f64_e32 v[46:47], s[14:15], v[36:37]
	v_fmac_f64_e32 v[34:35], s[6:7], v[38:39]
	;; [unrolled: 1-line block ×3, first 2 shown]
	v_add_f64 v[38:39], v[28:29], v[252:253]
	v_fmac_f64_e32 v[24:25], -0.5, v[38:39]
	v_fma_f64 v[38:39], s[12:13], v[36:37], v[24:25]
	v_fmac_f64_e32 v[24:25], s[0:1], v[36:37]
	v_fmac_f64_e32 v[38:39], s[4:5], v[32:33]
	;; [unrolled: 1-line block ×3, first 2 shown]
	v_add_f64 v[32:33], v[26:27], v[30:31]
	v_add_f64 v[32:33], v[32:33], v[246:247]
	;; [unrolled: 1-line block ×3, first 2 shown]
	v_add_f64 v[40:41], v[244:245], -v[28:29]
	v_add_f64 v[42:43], v[248:249], -v[252:253]
	v_add_f64 v[148:149], v[32:33], v[254:255]
	v_add_f64 v[32:33], v[246:247], v[250:251]
	v_add_f64 v[40:41], v[40:41], v[42:43]
	v_fma_f64 v[136:137], -0.5, v[32:33], v[26:27]
	v_add_f64 v[28:29], v[28:29], -v[252:253]
	v_fmac_f64_e32 v[38:39], s[6:7], v[40:41]
	v_fmac_f64_e32 v[24:25], s[6:7], v[40:41]
	v_fma_f64 v[42:43], s[12:13], v[28:29], v[136:137]
	v_add_f64 v[32:33], v[244:245], -v[248:249]
	v_add_f64 v[36:37], v[30:31], -v[246:247]
	;; [unrolled: 1-line block ×3, first 2 shown]
	v_fmac_f64_e32 v[136:137], s[0:1], v[28:29]
	v_fmac_f64_e32 v[42:43], s[14:15], v[32:33]
	v_add_f64 v[36:37], v[36:37], v[40:41]
	v_fmac_f64_e32 v[136:137], s[4:5], v[32:33]
	v_fmac_f64_e32 v[42:43], s[6:7], v[36:37]
	;; [unrolled: 1-line block ×3, first 2 shown]
	v_add_f64 v[36:37], v[30:31], v[254:255]
	v_fmac_f64_e32 v[26:27], -0.5, v[36:37]
	v_fma_f64 v[150:151], s[0:1], v[32:33], v[26:27]
	v_add_f64 v[30:31], v[246:247], -v[30:31]
	v_add_f64 v[36:37], v[250:251], -v[254:255]
	v_fmac_f64_e32 v[26:27], s[12:13], v[32:33]
	v_add_f64 v[30:31], v[30:31], v[36:37]
	v_fmac_f64_e32 v[26:27], s[4:5], v[28:29]
	v_fmac_f64_e32 v[150:151], s[14:15], v[28:29]
	;; [unrolled: 1-line block ×4, first 2 shown]
	v_mul_f64 v[156:157], v[26:27], s[0:1]
	v_add_f64 v[30:31], v[140:141], v[148:149]
	v_mul_f64 v[162:163], v[26:27], s[18:19]
	v_add_f64 v[26:27], v[140:141], -v[148:149]
	s_waitcnt lgkmcnt(0)
	; wave barrier
	buffer_load_dword v140, off, s[24:27], 0 offset:56 ; 4-byte Folded Reload
	s_waitcnt vmcnt(0)
	ds_write_b128 v140, v[96:99]
	ds_write_b128 v140, v[100:103] offset:16
	ds_write_b128 v140, v[104:107] offset:32
	;; [unrolled: 1-line block ×9, first 2 shown]
	buffer_load_dword v88, off, s[24:27], 0 offset:60 ; 4-byte Folded Reload
	v_mul_f64 v[152:153], v[42:43], s[4:5]
	v_mul_f64 v[154:155], v[150:151], s[0:1]
	;; [unrolled: 1-line block ×6, first 2 shown]
	v_fmac_f64_e32 v[152:153], s[16:17], v[34:35]
	v_fmac_f64_e32 v[154:155], s[6:7], v[38:39]
	;; [unrolled: 1-line block ×8, first 2 shown]
	v_add_f64 v[28:29], v[128:129], v[132:133]
	v_add_f64 v[32:33], v[134:135], v[152:153]
	;; [unrolled: 1-line block ×9, first 2 shown]
	v_add_f64 v[24:25], v[128:129], -v[132:133]
	v_add_f64 v[128:129], v[134:135], -v[152:153]
	;; [unrolled: 1-line block ×9, first 2 shown]
	s_waitcnt vmcnt(0)
	ds_write_b128 v88, v[56:59]
	ds_write_b128 v88, v[60:63] offset:16
	ds_write_b128 v88, v[64:67] offset:32
	;; [unrolled: 1-line block ×9, first 2 shown]
	ds_write_b128 v165, v[28:31]
	ds_write_b128 v165, v[32:35] offset:16
	ds_write_b128 v165, v[36:39] offset:32
	;; [unrolled: 1-line block ×9, first 2 shown]
	s_and_saveexec_b64 s[22:23], vcc
	s_cbranch_execz .LBB0_13
; %bb.12:
	v_accvgpr_read_b32 v86, a126
	v_accvgpr_read_b32 v94, a134
	;; [unrolled: 1-line block ×6, first 2 shown]
	v_add_f64 v[20:21], v[226:227], -v[238:239]
	v_add_f64 v[22:23], v[96:97], -v[88:89]
	v_accvgpr_read_b32 v90, a130
	v_accvgpr_read_b32 v98, a138
	v_add_f64 v[20:21], v[20:21], v[22:23]
	v_add_f64 v[22:23], v[238:239], v[88:89]
	v_accvgpr_read_b32 v91, a131
	v_accvgpr_read_b32 v99, a139
	;; [unrolled: 1-line block ×3, first 2 shown]
	v_fma_f64 v[40:41], -0.5, v[22:23], v[234:235]
	v_add_f64 v[22:23], v[228:229], -v[240:241]
	v_add_f64 v[26:27], v[98:99], -v[90:91]
	v_accvgpr_read_b32 v87, a127
	v_add_f64 v[24:25], v[224:225], -v[94:95]
	v_accvgpr_read_b32 v92, a132
	v_accvgpr_read_b32 v93, a133
	;; [unrolled: 1-line block ×4, first 2 shown]
	v_add_f64 v[32:33], v[22:23], v[26:27]
	v_add_f64 v[22:23], v[240:241], v[90:91]
	v_fma_f64 v[42:43], s[0:1], v[24:25], v[40:41]
	v_add_f64 v[28:29], v[236:237], -v[86:87]
	v_fma_f64 v[36:37], -0.5, v[22:23], v[220:221]
	v_add_f64 v[22:23], v[230:231], -v[242:243]
	v_add_f64 v[26:27], v[100:101], -v[92:93]
	v_fmac_f64_e32 v[40:41], s[12:13], v[24:25]
	v_fmac_f64_e32 v[42:43], s[4:5], v[28:29]
	v_add_f64 v[46:47], v[22:23], v[26:27]
	v_add_f64 v[26:27], v[238:239], -v[226:227]
	v_add_f64 v[30:31], v[88:89], -v[96:97]
	v_fmac_f64_e32 v[40:41], s[14:15], v[28:29]
	v_fmac_f64_e32 v[42:43], s[6:7], v[20:21]
	v_add_f64 v[30:31], v[26:27], v[30:31]
	v_add_f64 v[26:27], v[226:227], v[96:97]
	v_fmac_f64_e32 v[40:41], s[6:7], v[20:21]
	v_add_f64 v[20:21], v[234:235], v[226:227]
	v_fma_f64 v[58:59], -0.5, v[26:27], v[234:235]
	v_add_f64 v[26:27], v[240:241], -v[228:229]
	v_add_f64 v[62:63], v[90:91], -v[98:99]
	v_add_f64 v[20:21], v[20:21], v[238:239]
	v_add_f64 v[62:63], v[26:27], v[62:63]
	;; [unrolled: 1-line block ×4, first 2 shown]
	v_fma_f64 v[64:65], -0.5, v[26:27], v[220:221]
	v_add_f64 v[26:27], v[242:243], -v[230:231]
	v_add_f64 v[68:69], v[92:93], -v[100:101]
	v_add_f64 v[76:77], v[20:21], v[96:97]
	v_add_f64 v[20:21], v[222:223], v[230:231]
	v_add_f64 v[34:35], v[230:231], -v[100:101]
	v_add_f64 v[22:23], v[242:243], v[92:93]
	v_add_f64 v[68:69], v[26:27], v[68:69]
	;; [unrolled: 1-line block ×4, first 2 shown]
	v_fma_f64 v[44:45], s[12:13], v[34:35], v[36:37]
	v_add_f64 v[38:39], v[242:243], -v[92:93]
	v_fma_f64 v[48:49], -0.5, v[22:23], v[222:223]
	v_add_f64 v[50:51], v[228:229], -v[98:99]
	v_add_f64 v[54:55], v[240:241], -v[90:91]
	v_fma_f64 v[60:61], s[12:13], v[28:29], v[58:59]
	v_fma_f64 v[70:71], -0.5, v[26:27], v[222:223]
	v_fmac_f64_e32 v[58:59], s[0:1], v[28:29]
	v_fmac_f64_e32 v[36:37], s[0:1], v[34:35]
	v_add_f64 v[20:21], v[20:21], v[92:93]
	v_fmac_f64_e32 v[44:45], s[14:15], v[38:39]
	v_fma_f64 v[52:53], s[0:1], v[50:51], v[48:49]
	v_fmac_f64_e32 v[60:61], s[4:5], v[24:25]
	v_fma_f64 v[72:73], s[12:13], v[54:55], v[70:71]
	v_fmac_f64_e32 v[58:59], s[14:15], v[24:25]
	v_fmac_f64_e32 v[36:37], s[4:5], v[38:39]
	v_add_f64 v[78:79], v[20:21], v[100:101]
	v_add_f64 v[20:21], v[224:225], -v[236:237]
	v_add_f64 v[24:25], v[94:95], -v[86:87]
	v_fmac_f64_e32 v[44:45], s[6:7], v[32:33]
	v_fmac_f64_e32 v[52:53], s[4:5], v[54:55]
	v_fma_f64 v[66:67], s[0:1], v[38:39], v[64:65]
	v_fmac_f64_e32 v[72:73], s[4:5], v[50:51]
	v_fmac_f64_e32 v[36:37], s[6:7], v[32:33]
	v_add_f64 v[32:33], v[20:21], v[24:25]
	v_add_f64 v[24:25], v[236:237], -v[224:225]
	v_add_f64 v[28:29], v[86:87], -v[94:95]
	v_fmac_f64_e32 v[52:53], s[6:7], v[46:47]
	v_fmac_f64_e32 v[66:67], s[14:15], v[34:35]
	;; [unrolled: 1-line block ×5, first 2 shown]
	v_add_f64 v[28:29], v[24:25], v[28:29]
	v_add_f64 v[24:25], v[224:225], v[94:95]
	v_mul_f64 v[56:57], v[52:53], s[20:21]
	v_fmac_f64_e32 v[66:67], s[6:7], v[62:63]
	v_mul_f64 v[74:75], v[72:73], s[18:19]
	v_fmac_f64_e32 v[70:71], s[14:15], v[50:51]
	v_fmac_f64_e32 v[48:49], s[14:15], v[54:55]
	v_add_f64 v[20:21], v[236:237], v[86:87]
	v_add_f64 v[50:51], v[238:239], -v[88:89]
	v_mul_f64 v[52:53], v[52:53], s[4:5]
	v_fma_f64 v[84:85], -0.5, v[24:25], v[232:233]
	v_fmac_f64_e32 v[56:57], s[14:15], v[44:45]
	v_fmac_f64_e32 v[60:61], s[6:7], v[30:31]
	;; [unrolled: 1-line block ×4, first 2 shown]
	v_fma_f64 v[80:81], -0.5, v[20:21], v[232:233]
	v_add_f64 v[46:47], v[226:227], -v[96:97]
	v_fmac_f64_e32 v[52:53], s[20:21], v[44:45]
	v_fma_f64 v[44:45], s[0:1], v[50:51], v[84:85]
	v_fmac_f64_e32 v[84:85], s[12:13], v[50:51]
	v_add_f64 v[26:27], v[60:61], -v[74:75]
	v_fma_f64 v[82:83], s[12:13], v[46:47], v[80:81]
	v_fmac_f64_e32 v[44:45], s[14:15], v[46:47]
	v_fmac_f64_e32 v[84:85], s[4:5], v[46:47]
	;; [unrolled: 1-line block ×3, first 2 shown]
	v_add_f64 v[46:47], v[60:61], v[74:75]
	buffer_load_dword v60, off, s[24:27], 0 offset:768 ; 4-byte Folded Reload
	v_fmac_f64_e32 v[64:65], s[12:13], v[38:39]
	v_fmac_f64_e32 v[64:65], s[4:5], v[34:35]
	;; [unrolled: 1-line block ×3, first 2 shown]
	v_mul_f64 v[72:73], v[72:73], s[0:1]
	v_fmac_f64_e32 v[64:65], s[6:7], v[62:63]
	v_mul_f64 v[62:63], v[70:71], s[6:7]
	v_fmac_f64_e32 v[72:73], s[18:19], v[66:67]
	;; [unrolled: 2-line block ×3, first 2 shown]
	v_fmac_f64_e32 v[66:67], s[6:7], v[64:65]
	v_mul_f64 v[64:65], v[48:49], s[4:5]
	v_mul_f64 v[68:69], v[36:37], s[14:15]
	v_fmac_f64_e32 v[64:65], s[16:17], v[36:37]
	v_add_f64 v[36:37], v[232:233], v[224:225]
	v_add_f64 v[36:37], v[36:37], v[236:237]
	;; [unrolled: 1-line block ×7, first 2 shown]
	v_fmac_f64_e32 v[58:59], s[6:7], v[30:31]
	v_fmac_f64_e32 v[82:83], s[14:15], v[50:51]
	v_fmac_f64_e32 v[80:81], s[4:5], v[50:51]
	v_add_f64 v[86:87], v[36:37], v[98:99]
	v_add_f64 v[22:23], v[42:43], -v[56:57]
	v_add_f64 v[30:31], v[58:59], -v[62:63]
	v_fmac_f64_e32 v[68:69], s[16:17], v[48:49]
	v_fmac_f64_e32 v[82:83], s[6:7], v[32:33]
	;; [unrolled: 1-line block ×5, first 2 shown]
	v_add_f64 v[42:43], v[42:43], v[56:57]
	v_add_f64 v[50:51], v[58:59], v[62:63]
	;; [unrolled: 1-line block ×4, first 2 shown]
	v_add_f64 v[34:35], v[40:41], -v[68:69]
	v_add_f64 v[38:39], v[76:77], -v[78:79]
	;; [unrolled: 1-line block ×7, first 2 shown]
	v_add_f64 v[54:55], v[40:41], v[68:69]
	v_add_f64 v[40:41], v[82:83], v[52:53]
	;; [unrolled: 1-line block ×5, first 2 shown]
	s_waitcnt vmcnt(0)
	v_lshlrev_b32_e32 v60, 4, v60
	ds_write_b128 v60, v[56:59]
	ds_write_b128 v60, v[52:55] offset:16
	ds_write_b128 v60, v[48:51] offset:32
	;; [unrolled: 1-line block ×9, first 2 shown]
.LBB0_13:
	s_or_b64 exec, exec, s[22:23]
	s_waitcnt lgkmcnt(0)
	; wave barrier
	s_waitcnt lgkmcnt(0)
	ds_read_b128 v[24:27], v164 offset:5760
	ds_read_b128 v[20:23], v164 offset:4800
	buffer_load_dword v30, off, s[24:27], 0 offset:576 ; 4-byte Folded Reload
	buffer_load_dword v31, off, s[24:27], 0 offset:580 ; 4-byte Folded Reload
	;; [unrolled: 1-line block ×4, first 2 shown]
	v_accvgpr_read_b32 v78, a210
	v_accvgpr_read_b32 v80, a212
	;; [unrolled: 1-line block ×8, first 2 shown]
	s_mov_b32 s0, 0xe8584caa
	s_mov_b32 s1, 0xbfebb67a
	;; [unrolled: 1-line block ×4, first 2 shown]
	s_waitcnt vmcnt(0) lgkmcnt(1)
	v_mul_f64 v[28:29], v[32:33], v[26:27]
	v_fmac_f64_e32 v[28:29], v[30:31], v[24:25]
	v_mul_f64 v[24:25], v[32:33], v[24:25]
	v_fma_f64 v[24:25], v[30:31], v[26:27], -v[24:25]
	ds_read_b128 v[30:33], v164 offset:11520
	ds_read_b128 v[66:69], v164 offset:10560
	buffer_load_dword v34, off, s[24:27], 0 offset:560 ; 4-byte Folded Reload
	buffer_load_dword v35, off, s[24:27], 0 offset:564 ; 4-byte Folded Reload
	buffer_load_dword v36, off, s[24:27], 0 offset:568 ; 4-byte Folded Reload
	buffer_load_dword v37, off, s[24:27], 0 offset:572 ; 4-byte Folded Reload
	s_waitcnt vmcnt(0) lgkmcnt(1)
	v_mul_f64 v[26:27], v[36:37], v[32:33]
	v_fmac_f64_e32 v[26:27], v[34:35], v[30:31]
	v_mul_f64 v[30:31], v[36:37], v[30:31]
	v_fma_f64 v[132:133], v[34:35], v[32:33], -v[30:31]
	ds_read_b128 v[30:33], v164 offset:17280
	ds_read_b128 v[70:73], v164 offset:16320
	buffer_load_dword v34, off, s[24:27], 0 offset:544 ; 4-byte Folded Reload
	buffer_load_dword v35, off, s[24:27], 0 offset:548 ; 4-byte Folded Reload
	buffer_load_dword v36, off, s[24:27], 0 offset:552 ; 4-byte Folded Reload
	buffer_load_dword v37, off, s[24:27], 0 offset:556 ; 4-byte Folded Reload
	s_waitcnt vmcnt(0) lgkmcnt(1)
	v_mul_f64 v[134:135], v[36:37], v[32:33]
	v_fmac_f64_e32 v[134:135], v[34:35], v[30:31]
	v_mul_f64 v[30:31], v[36:37], v[30:31]
	v_fma_f64 v[140:141], v[34:35], v[32:33], -v[30:31]
	ds_read_b128 v[30:33], v164 offset:23040
	ds_read_b128 v[116:119], v164 offset:22080
	buffer_load_dword v34, off, s[24:27], 0 offset:528 ; 4-byte Folded Reload
	buffer_load_dword v35, off, s[24:27], 0 offset:532 ; 4-byte Folded Reload
	buffer_load_dword v36, off, s[24:27], 0 offset:536 ; 4-byte Folded Reload
	buffer_load_dword v37, off, s[24:27], 0 offset:540 ; 4-byte Folded Reload
	s_waitcnt vmcnt(0) lgkmcnt(1)
	v_mul_f64 v[108:109], v[36:37], v[32:33]
	v_fmac_f64_e32 v[108:109], v[34:35], v[30:31]
	v_mul_f64 v[30:31], v[36:37], v[30:31]
	v_fma_f64 v[110:111], v[34:35], v[32:33], -v[30:31]
	ds_read_b128 v[30:33], v164 offset:28800
	ds_read_b128 v[120:123], v164 offset:27840
	buffer_load_dword v34, off, s[24:27], 0 offset:512 ; 4-byte Folded Reload
	buffer_load_dword v35, off, s[24:27], 0 offset:516 ; 4-byte Folded Reload
	buffer_load_dword v36, off, s[24:27], 0 offset:520 ; 4-byte Folded Reload
	buffer_load_dword v37, off, s[24:27], 0 offset:524 ; 4-byte Folded Reload
	s_waitcnt vmcnt(0) lgkmcnt(1)
	v_mul_f64 v[112:113], v[36:37], v[32:33]
	v_fmac_f64_e32 v[112:113], v[34:35], v[30:31]
	v_mul_f64 v[30:31], v[36:37], v[30:31]
	v_fma_f64 v[114:115], v[34:35], v[32:33], -v[30:31]
	ds_read_b128 v[34:37], v164 offset:6720
	ds_read_b128 v[42:45], v164 offset:7680
	buffer_load_dword v38, off, s[24:27], 0 offset:656 ; 4-byte Folded Reload
	buffer_load_dword v39, off, s[24:27], 0 offset:660 ; 4-byte Folded Reload
	buffer_load_dword v40, off, s[24:27], 0 offset:664 ; 4-byte Folded Reload
	buffer_load_dword v41, off, s[24:27], 0 offset:668 ; 4-byte Folded Reload
	s_waitcnt vmcnt(0) lgkmcnt(1)
	v_mul_f64 v[32:33], v[40:41], v[36:37]
	v_mul_f64 v[30:31], v[40:41], v[34:35]
	v_fmac_f64_e32 v[32:33], v[38:39], v[34:35]
	v_fma_f64 v[34:35], v[38:39], v[36:37], -v[30:31]
	ds_read_b128 v[36:39], v164 offset:12480
	ds_read_b128 v[46:49], v164 offset:13440
	buffer_load_dword v50, off, s[24:27], 0 offset:640 ; 4-byte Folded Reload
	buffer_load_dword v51, off, s[24:27], 0 offset:644 ; 4-byte Folded Reload
	buffer_load_dword v52, off, s[24:27], 0 offset:648 ; 4-byte Folded Reload
	buffer_load_dword v53, off, s[24:27], 0 offset:652 ; 4-byte Folded Reload
	s_waitcnt vmcnt(0) lgkmcnt(1)
	v_mul_f64 v[142:143], v[52:53], v[38:39]
	v_mul_f64 v[30:31], v[52:53], v[36:37]
	v_fmac_f64_e32 v[142:143], v[50:51], v[36:37]
	v_fma_f64 v[148:149], v[50:51], v[38:39], -v[30:31]
	ds_read_b128 v[38:41], v164 offset:18240
	ds_read_b128 v[50:53], v164 offset:19200
	buffer_load_dword v54, off, s[24:27], 0 offset:624 ; 4-byte Folded Reload
	buffer_load_dword v55, off, s[24:27], 0 offset:628 ; 4-byte Folded Reload
	buffer_load_dword v56, off, s[24:27], 0 offset:632 ; 4-byte Folded Reload
	buffer_load_dword v57, off, s[24:27], 0 offset:636 ; 4-byte Folded Reload
	;; [unrolled: 11-line block ×3, first 2 shown]
	v_add_f64 v[154:155], v[34:35], v[38:39]
	s_waitcnt vmcnt(0) lgkmcnt(1)
	v_mul_f64 v[100:101], v[64:65], v[56:57]
	v_mul_f64 v[30:31], v[64:65], v[54:55]
	v_fmac_f64_e32 v[100:101], v[62:63], v[54:55]
	v_fma_f64 v[102:103], v[62:63], v[56:57], -v[30:31]
	ds_read_b128 v[54:57], v164 offset:29760
	ds_read_b128 v[62:65], v164 offset:30720
	buffer_load_dword v74, off, s[24:27], 0 offset:592 ; 4-byte Folded Reload
	buffer_load_dword v75, off, s[24:27], 0 offset:596 ; 4-byte Folded Reload
	;; [unrolled: 1-line block ×4, first 2 shown]
	v_add_f64 v[146:147], v[148:149], -v[102:103]
	s_waitcnt vmcnt(0) lgkmcnt(1)
	v_mul_f64 v[104:105], v[76:77], v[56:57]
	v_mul_f64 v[30:31], v[76:77], v[54:55]
	v_fmac_f64_e32 v[104:105], v[74:75], v[54:55]
	v_fma_f64 v[106:107], v[74:75], v[56:57], -v[30:31]
	buffer_load_dword v54, off, s[24:27], 0 offset:736 ; 4-byte Folded Reload
	buffer_load_dword v55, off, s[24:27], 0 offset:740 ; 4-byte Folded Reload
	;; [unrolled: 1-line block ×4, first 2 shown]
	v_accvgpr_read_b32 v74, a214
	v_accvgpr_read_b32 v76, a216
	;; [unrolled: 1-line block ×4, first 2 shown]
	s_waitcnt vmcnt(0)
	v_mul_f64 v[40:41], v[56:57], v[44:45]
	v_mul_f64 v[30:31], v[56:57], v[42:43]
	v_fmac_f64_e32 v[40:41], v[54:55], v[42:43]
	v_fma_f64 v[42:43], v[54:55], v[44:45], -v[30:31]
	buffer_load_dword v54, off, s[24:27], 0 offset:720 ; 4-byte Folded Reload
	buffer_load_dword v55, off, s[24:27], 0 offset:724 ; 4-byte Folded Reload
	;; [unrolled: 1-line block ×4, first 2 shown]
	s_waitcnt vmcnt(0)
	v_mul_f64 v[160:161], v[56:57], v[48:49]
	v_mul_f64 v[30:31], v[56:57], v[46:47]
	v_fmac_f64_e32 v[160:161], v[54:55], v[46:47]
	v_fma_f64 v[166:167], v[54:55], v[48:49], -v[30:31]
	buffer_load_dword v46, off, s[24:27], 0 offset:704 ; 4-byte Folded Reload
	buffer_load_dword v47, off, s[24:27], 0 offset:708 ; 4-byte Folded Reload
	;; [unrolled: 1-line block ×4, first 2 shown]
	v_accvgpr_read_b32 v54, a218
	v_accvgpr_read_b32 v56, a220
	;; [unrolled: 1-line block ×4, first 2 shown]
	s_waitcnt vmcnt(0)
	v_mul_f64 v[44:45], v[48:49], v[52:53]
	v_fmac_f64_e32 v[44:45], v[46:47], v[50:51]
	v_mul_f64 v[30:31], v[48:49], v[50:51]
	buffer_load_dword v48, off, s[24:27], 0 offset:688 ; 4-byte Folded Reload
	buffer_load_dword v49, off, s[24:27], 0 offset:692 ; 4-byte Folded Reload
	;; [unrolled: 1-line block ×4, first 2 shown]
	v_fma_f64 v[46:47], v[46:47], v[52:53], -v[30:31]
	v_add_f64 v[176:177], v[42:43], v[46:47]
	v_add_f64 v[170:171], v[40:41], v[44:45]
	s_waitcnt vmcnt(0)
	v_mul_f64 v[90:91], v[50:51], v[60:61]
	v_mul_f64 v[30:31], v[50:51], v[58:59]
	v_fmac_f64_e32 v[90:91], v[48:49], v[58:59]
	v_fma_f64 v[94:95], v[48:49], v[60:61], -v[30:31]
	buffer_load_dword v48, off, s[24:27], 0 offset:672 ; 4-byte Folded Reload
	buffer_load_dword v49, off, s[24:27], 0 offset:676 ; 4-byte Folded Reload
	;; [unrolled: 1-line block ×4, first 2 shown]
	s_waitcnt vmcnt(0) lgkmcnt(0)
	v_mul_f64 v[96:97], v[50:51], v[64:65]
	v_mul_f64 v[30:31], v[50:51], v[62:63]
	ds_read_b128 v[50:53], v164 offset:8640
	ds_read_b128 v[58:61], v164 offset:9600
	v_fmac_f64_e32 v[96:97], v[48:49], v[62:63]
	v_fma_f64 v[98:99], v[48:49], v[64:65], -v[30:31]
	v_add_f64 v[174:175], v[46:47], -v[98:99]
	s_waitcnt lgkmcnt(1)
	v_mul_f64 v[48:49], v[56:57], v[52:53]
	v_mul_f64 v[30:31], v[56:57], v[50:51]
	v_fmac_f64_e32 v[48:49], v[54:55], v[50:51]
	v_fma_f64 v[50:51], v[54:55], v[52:53], -v[30:31]
	ds_read_b128 v[52:55], v164 offset:14400
	ds_read_b128 v[62:65], v164 offset:15360
	v_add_f64 v[46:47], v[46:47], v[98:99]
	v_fmac_f64_e32 v[42:43], -0.5, v[46:47]
	s_waitcnt lgkmcnt(1)
	v_mul_f64 v[182:183], v[76:77], v[54:55]
	v_mul_f64 v[30:31], v[76:77], v[52:53]
	v_fmac_f64_e32 v[182:183], v[74:75], v[52:53]
	v_fma_f64 v[186:187], v[74:75], v[54:55], -v[30:31]
	ds_read_b128 v[54:57], v164 offset:20160
	ds_read_b128 v[74:77], v164 offset:21120
	s_waitcnt lgkmcnt(1)
	v_mul_f64 v[52:53], v[80:81], v[56:57]
	v_mul_f64 v[30:31], v[80:81], v[54:55]
	v_fmac_f64_e32 v[52:53], v[78:79], v[54:55]
	v_fma_f64 v[54:55], v[78:79], v[56:57], -v[30:31]
	ds_read_b128 v[78:81], v164 offset:25920
	ds_read_b128 v[124:127], v164 offset:26880
	buffer_load_dword v86, off, s[24:27], 0 offset:752 ; 4-byte Folded Reload
	buffer_load_dword v87, off, s[24:27], 0 offset:756 ; 4-byte Folded Reload
	;; [unrolled: 1-line block ×4, first 2 shown]
	v_add_f64 v[220:221], v[50:51], v[54:55]
	v_add_f64 v[188:189], v[48:49], v[52:53]
	s_waitcnt vmcnt(0) lgkmcnt(1)
	v_mul_f64 v[84:85], v[88:89], v[80:81]
	v_mul_f64 v[30:31], v[88:89], v[78:79]
	v_fmac_f64_e32 v[84:85], v[86:87], v[78:79]
	v_fma_f64 v[86:87], v[86:87], v[80:81], -v[30:31]
	ds_read_b128 v[78:81], v164 offset:31680
	ds_read_b128 v[128:131], v164 offset:32640
	ds_read_b128 v[150:153], v164
	s_waitcnt lgkmcnt(2)
	v_mul_f64 v[88:89], v[138:139], v[80:81]
	v_mul_f64 v[30:31], v[138:139], v[78:79]
	v_fmac_f64_e32 v[88:89], v[136:137], v[78:79]
	v_fma_f64 v[92:93], v[136:137], v[80:81], -v[30:31]
	v_accvgpr_read_b32 v81, a15
	v_accvgpr_read_b32 v80, a14
	v_accvgpr_read_b32 v79, a13
	v_accvgpr_read_b32 v78, a12
	v_mul_f64 v[56:57], v[80:81], v[60:61]
	v_mul_f64 v[30:31], v[80:81], v[58:59]
	v_fmac_f64_e32 v[56:57], v[78:79], v[58:59]
	v_fma_f64 v[58:59], v[78:79], v[60:61], -v[30:31]
	v_accvgpr_read_b32 v78, a242
	v_accvgpr_read_b32 v80, a244
	v_accvgpr_read_b32 v81, a245
	v_accvgpr_read_b32 v79, a243
	;; [unrolled: 8-line block ×3, first 2 shown]
	v_accvgpr_read_b32 v63, a235
	v_mul_f64 v[60:61], v[64:65], v[76:77]
	v_mul_f64 v[30:31], v[64:65], v[74:75]
	v_accvgpr_read_b32 v80, a228
	v_accvgpr_read_b32 v81, a229
	v_fmac_f64_e32 v[60:61], v[62:63], v[74:75]
	v_fma_f64 v[62:63], v[62:63], v[76:77], -v[30:31]
	v_accvgpr_read_b32 v79, a227
	v_mul_f64 v[76:77], v[80:81], v[126:127]
	v_mul_f64 v[30:31], v[80:81], v[124:125]
	v_fmac_f64_e32 v[76:77], v[78:79], v[124:125]
	v_fma_f64 v[78:79], v[78:79], v[126:127], -v[30:31]
	v_accvgpr_read_b32 v124, a246
	v_accvgpr_read_b32 v126, a248
	;; [unrolled: 1-line block ×4, first 2 shown]
	s_waitcnt lgkmcnt(1)
	v_mul_f64 v[80:81], v[126:127], v[130:131]
	v_mul_f64 v[30:31], v[126:127], v[128:129]
	v_fmac_f64_e32 v[80:81], v[124:125], v[128:129]
	v_fma_f64 v[82:83], v[124:125], v[130:131], -v[30:31]
	v_accvgpr_read_b32 v127, a11
	v_accvgpr_read_b32 v126, a10
	;; [unrolled: 1-line block ×4, first 2 shown]
	v_mul_f64 v[64:65], v[126:127], v[68:69]
	v_mul_f64 v[30:31], v[126:127], v[66:67]
	v_fmac_f64_e32 v[64:65], v[124:125], v[66:67]
	v_fma_f64 v[66:67], v[124:125], v[68:69], -v[30:31]
	v_accvgpr_read_b32 v124, a250
	v_accvgpr_read_b32 v126, a252
	;; [unrolled: 1-line block ×4, first 2 shown]
	v_mul_f64 v[138:139], v[126:127], v[72:73]
	v_fmac_f64_e32 v[138:139], v[124:125], v[70:71]
	v_mul_f64 v[30:31], v[126:127], v[70:71]
	v_accvgpr_read_b32 v68, a238
	v_accvgpr_read_b32 v70, a240
	;; [unrolled: 1-line block ×3, first 2 shown]
	v_fma_f64 v[144:145], v[124:125], v[72:73], -v[30:31]
	v_accvgpr_read_b32 v69, a239
	v_mul_f64 v[128:129], v[70:71], v[118:119]
	v_mul_f64 v[30:31], v[70:71], v[116:117]
	v_fmac_f64_e32 v[128:129], v[68:69], v[116:117]
	v_fma_f64 v[136:137], v[68:69], v[118:119], -v[30:31]
	v_accvgpr_read_b32 v70, a230
	ds_read_b128 v[116:119], v164 offset:33600
	v_accvgpr_read_b32 v72, a232
	v_accvgpr_read_b32 v73, a233
	;; [unrolled: 1-line block ×3, first 2 shown]
	v_mul_f64 v[68:69], v[72:73], v[122:123]
	v_mul_f64 v[30:31], v[72:73], v[120:121]
	v_fmac_f64_e32 v[68:69], v[70:71], v[120:121]
	v_fma_f64 v[70:71], v[70:71], v[122:123], -v[30:31]
	v_accvgpr_read_b32 v123, a7
	v_accvgpr_read_b32 v122, a6
	;; [unrolled: 1-line block ×4, first 2 shown]
	s_waitcnt lgkmcnt(0)
	v_mul_f64 v[30:31], v[122:123], v[116:117]
	v_mul_f64 v[72:73], v[122:123], v[118:119]
	v_fma_f64 v[74:75], v[120:121], v[118:119], -v[30:31]
	v_add_f64 v[30:31], v[26:27], v[108:109]
	v_fmac_f64_e32 v[72:73], v[120:121], v[116:117]
	v_add_f64 v[116:117], v[150:151], v[26:27]
	v_fmac_f64_e32 v[150:151], -0.5, v[30:31]
	v_add_f64 v[30:31], v[132:133], -v[110:111]
	v_fma_f64 v[118:119], s[0:1], v[30:31], v[150:151]
	v_fmac_f64_e32 v[150:151], s[4:5], v[30:31]
	v_add_f64 v[30:31], v[132:133], v[110:111]
	v_add_f64 v[122:123], v[152:153], v[132:133]
	v_fmac_f64_e32 v[152:153], -0.5, v[30:31]
	v_add_f64 v[26:27], v[26:27], -v[108:109]
	v_fma_f64 v[120:121], s[4:5], v[26:27], v[152:153]
	v_fmac_f64_e32 v[152:153], s[0:1], v[26:27]
	v_add_f64 v[26:27], v[134:135], v[112:113]
	;; [unrolled: 6-line block ×3, first 2 shown]
	v_add_f64 v[132:133], v[24:25], v[140:141]
	v_fmac_f64_e32 v[24:25], -0.5, v[26:27]
	v_add_f64 v[26:27], v[134:135], -v[112:113]
	v_fma_f64 v[130:131], s[4:5], v[26:27], v[24:25]
	v_fmac_f64_e32 v[24:25], s[0:1], v[26:27]
	ds_read_b128 v[156:159], v164 offset:960
	ds_read_b128 v[178:181], v164 offset:1920
	v_mul_f64 v[26:27], v[24:25], s[0:1]
	v_mul_f64 v[134:135], v[24:25], -0.5
	v_fmac_f64_e32 v[26:27], -0.5, v[28:29]
	v_fmac_f64_e32 v[134:135], s[4:5], v[28:29]
	v_add_f64 v[28:29], v[150:151], v[26:27]
	v_add_f64 v[30:31], v[152:153], v[134:135]
	v_add_f64 v[24:25], v[150:151], -v[26:27]
	v_add_f64 v[26:27], v[152:153], -v[134:135]
	v_add_f64 v[134:135], v[142:143], v[100:101]
	s_waitcnt lgkmcnt(1)
	v_add_f64 v[140:141], v[156:157], v[142:143]
	v_fmac_f64_e32 v[156:157], -0.5, v[134:135]
	v_fma_f64 v[134:135], s[0:1], v[146:147], v[156:157]
	v_fmac_f64_e32 v[156:157], s[4:5], v[146:147]
	v_add_f64 v[146:147], v[158:159], v[148:149]
	v_add_f64 v[148:149], v[148:149], v[102:103]
	v_fmac_f64_e32 v[158:159], -0.5, v[148:149]
	v_add_f64 v[148:149], v[142:143], -v[100:101]
	v_fma_f64 v[142:143], s[4:5], v[148:149], v[158:159]
	v_fmac_f64_e32 v[158:159], s[0:1], v[148:149]
	v_add_f64 v[148:149], v[36:37], v[104:105]
	v_add_f64 v[152:153], v[38:39], -v[106:107]
	v_add_f64 v[38:39], v[38:39], v[106:107]
	v_add_f64 v[150:151], v[32:33], v[36:37]
	v_fmac_f64_e32 v[32:33], -0.5, v[148:149]
	v_fmac_f64_e32 v[34:35], -0.5, v[38:39]
	v_add_f64 v[36:37], v[36:37], -v[104:105]
	v_fma_f64 v[148:149], s[0:1], v[152:153], v[32:33]
	v_fmac_f64_e32 v[32:33], s[4:5], v[152:153]
	v_fma_f64 v[152:153], s[4:5], v[36:37], v[34:35]
	v_fmac_f64_e32 v[34:35], s[0:1], v[36:37]
	v_mul_f64 v[162:163], v[34:35], s[0:1]
	v_fmac_f64_e32 v[162:163], -0.5, v[32:33]
	v_mul_f64 v[34:35], v[34:35], -0.5
	v_fmac_f64_e32 v[34:35], s[4:5], v[32:33]
	v_add_f64 v[36:37], v[156:157], v[162:163]
	v_add_f64 v[32:33], v[156:157], -v[162:163]
	v_add_f64 v[156:157], v[160:161], v[90:91]
	v_add_f64 v[38:39], v[158:159], v[34:35]
	v_add_f64 v[34:35], v[158:159], -v[34:35]
	s_waitcnt lgkmcnt(0)
	v_add_f64 v[158:159], v[178:179], v[160:161]
	v_fmac_f64_e32 v[178:179], -0.5, v[156:157]
	v_add_f64 v[162:163], v[166:167], -v[94:95]
	v_fma_f64 v[156:157], s[0:1], v[162:163], v[178:179]
	v_fmac_f64_e32 v[178:179], s[4:5], v[162:163]
	v_add_f64 v[162:163], v[180:181], v[166:167]
	v_add_f64 v[166:167], v[166:167], v[94:95]
	v_fmac_f64_e32 v[180:181], -0.5, v[166:167]
	v_add_f64 v[166:167], v[160:161], -v[90:91]
	v_fma_f64 v[160:161], s[4:5], v[166:167], v[180:181]
	v_fmac_f64_e32 v[180:181], s[0:1], v[166:167]
	v_add_f64 v[166:167], v[44:45], v[96:97]
	v_fmac_f64_e32 v[40:41], -0.5, v[166:167]
	v_add_f64 v[44:45], v[44:45], -v[96:97]
	v_fma_f64 v[166:167], s[0:1], v[174:175], v[40:41]
	v_fmac_f64_e32 v[40:41], s[4:5], v[174:175]
	v_fma_f64 v[174:175], s[4:5], v[44:45], v[42:43]
	v_fmac_f64_e32 v[42:43], s[0:1], v[44:45]
	ds_read_b128 v[222:225], v164 offset:2880
	ds_read_b128 v[234:237], v164 offset:3840
	v_mul_f64 v[184:185], v[42:43], s[0:1]
	v_add_f64 v[116:117], v[116:117], v[108:109]
	v_add_f64 v[112:113], v[126:127], v[112:113]
	v_fmac_f64_e32 v[184:185], -0.5, v[40:41]
	v_mul_f64 v[42:43], v[42:43], -0.5
	v_add_f64 v[108:109], v[116:117], v[112:113]
	v_add_f64 v[112:113], v[116:117], -v[112:113]
	v_mul_f64 v[116:117], v[130:131], s[0:1]
	v_mul_f64 v[126:127], v[130:131], 0.5
	v_fmac_f64_e32 v[42:43], s[4:5], v[40:41]
	v_add_f64 v[44:45], v[178:179], v[184:185]
	v_add_f64 v[40:41], v[178:179], -v[184:185]
	v_add_f64 v[178:179], v[182:183], v[84:85]
	v_add_f64 v[122:123], v[122:123], v[110:111]
	;; [unrolled: 1-line block ×3, first 2 shown]
	v_fmac_f64_e32 v[116:117], 0.5, v[124:125]
	v_fmac_f64_e32 v[126:127], s[4:5], v[124:125]
	v_add_f64 v[46:47], v[180:181], v[42:43]
	v_add_f64 v[42:43], v[180:181], -v[42:43]
	s_waitcnt lgkmcnt(1)
	v_add_f64 v[180:181], v[222:223], v[182:183]
	v_fmac_f64_e32 v[222:223], -0.5, v[178:179]
	v_add_f64 v[184:185], v[186:187], -v[86:87]
	v_add_f64 v[110:111], v[122:123], v[114:115]
	v_add_f64 v[114:115], v[122:123], -v[114:115]
	v_add_f64 v[122:123], v[118:119], v[116:117]
	v_add_f64 v[124:125], v[120:121], v[126:127]
	v_add_f64 v[116:117], v[118:119], -v[116:117]
	v_add_f64 v[118:119], v[120:121], -v[126:127]
	v_accvgpr_read_b32 v120, a176
	v_fma_f64 v[178:179], s[0:1], v[184:185], v[222:223]
	v_fmac_f64_e32 v[222:223], s[4:5], v[184:185]
	v_add_f64 v[184:185], v[224:225], v[186:187]
	v_add_f64 v[186:187], v[186:187], v[86:87]
	s_waitcnt lgkmcnt(0)
	; wave barrier
	s_waitcnt lgkmcnt(0)
	ds_write_b128 v120, v[108:111]
	ds_write_b128 v120, v[122:125] offset:160
	ds_write_b128 v120, v[28:31] offset:320
	;; [unrolled: 1-line block ×5, first 2 shown]
	v_add_f64 v[28:29], v[140:141], v[100:101]
	v_add_f64 v[30:31], v[146:147], v[102:103]
	;; [unrolled: 1-line block ×4, first 2 shown]
	v_mul_f64 v[104:105], v[152:153], s[0:1]
	v_mul_f64 v[106:107], v[152:153], 0.5
	v_fmac_f64_e32 v[224:225], -0.5, v[186:187]
	v_add_f64 v[186:187], v[182:183], -v[84:85]
	v_add_f64 v[24:25], v[28:29], v[100:101]
	v_add_f64 v[26:27], v[30:31], v[102:103]
	v_fmac_f64_e32 v[104:105], 0.5, v[148:149]
	v_fmac_f64_e32 v[106:107], s[4:5], v[148:149]
	v_accvgpr_read_b32 v108, a155
	v_fma_f64 v[182:183], s[4:5], v[186:187], v[224:225]
	v_fmac_f64_e32 v[224:225], s[0:1], v[186:187]
	v_add_f64 v[186:187], v[52:53], v[88:89]
	v_add_f64 v[190:191], v[54:55], -v[92:93]
	v_add_f64 v[54:55], v[54:55], v[92:93]
	v_add_f64 v[28:29], v[28:29], -v[100:101]
	v_add_f64 v[30:31], v[30:31], -v[102:103]
	v_add_f64 v[100:101], v[134:135], v[104:105]
	v_add_f64 v[102:103], v[142:143], v[106:107]
	v_add_f64 v[104:105], v[134:135], -v[104:105]
	v_add_f64 v[106:107], v[142:143], -v[106:107]
	ds_write_b128 v108, v[24:27]
	ds_write_b128 v108, v[100:103] offset:160
	ds_write_b128 v108, v[36:39] offset:320
	ds_write_b128 v108, v[28:31] offset:480
	ds_write_b128 v108, v[104:107] offset:640
	ds_write_b128 v108, v[32:35] offset:800
	v_mul_f64 v[36:37], v[174:175], s[0:1]
	v_mul_f64 v[38:39], v[174:175], 0.5
	v_fmac_f64_e32 v[48:49], -0.5, v[186:187]
	v_fmac_f64_e32 v[50:51], -0.5, v[54:55]
	v_add_f64 v[52:53], v[52:53], -v[88:89]
	v_add_f64 v[28:29], v[158:159], v[90:91]
	v_add_f64 v[30:31], v[162:163], v[94:95]
	;; [unrolled: 1-line block ×4, first 2 shown]
	v_fmac_f64_e32 v[36:37], 0.5, v[166:167]
	v_fmac_f64_e32 v[38:39], s[4:5], v[166:167]
	v_fma_f64 v[186:187], s[0:1], v[190:191], v[48:49]
	v_fmac_f64_e32 v[48:49], s[4:5], v[190:191]
	v_fma_f64 v[190:191], s[4:5], v[52:53], v[50:51]
	v_fmac_f64_e32 v[50:51], s[0:1], v[52:53]
	v_add_f64 v[24:25], v[28:29], v[32:33]
	v_add_f64 v[26:27], v[30:31], v[34:35]
	v_add_f64 v[28:29], v[28:29], -v[32:33]
	v_add_f64 v[30:31], v[30:31], -v[34:35]
	v_add_f64 v[32:33], v[156:157], v[36:37]
	v_add_f64 v[34:35], v[160:161], v[38:39]
	v_add_f64 v[36:37], v[156:157], -v[36:37]
	v_add_f64 v[38:39], v[160:161], -v[38:39]
	v_accvgpr_read_b32 v90, a154
	v_mul_f64 v[226:227], v[50:51], s[0:1]
	v_mul_f64 v[50:51], v[50:51], -0.5
	ds_write_b128 v90, v[24:27]
	ds_write_b128 v90, v[32:35] offset:160
	ds_write_b128 v90, v[44:47] offset:320
	ds_write_b128 v90, v[28:31] offset:480
	ds_write_b128 v90, v[36:39] offset:640
	ds_write_b128 v90, v[40:43] offset:800
	v_add_f64 v[28:29], v[180:181], v[84:85]
	v_add_f64 v[30:31], v[184:185], v[86:87]
	;; [unrolled: 1-line block ×4, first 2 shown]
	v_mul_f64 v[36:37], v[190:191], s[0:1]
	v_mul_f64 v[38:39], v[190:191], 0.5
	v_fmac_f64_e32 v[226:227], -0.5, v[48:49]
	v_fmac_f64_e32 v[50:51], s[4:5], v[48:49]
	v_add_f64 v[24:25], v[28:29], v[32:33]
	v_add_f64 v[26:27], v[30:31], v[34:35]
	v_fmac_f64_e32 v[36:37], 0.5, v[186:187]
	v_fmac_f64_e32 v[38:39], s[4:5], v[186:187]
	v_accvgpr_read_b32 v40, a89
	v_add_f64 v[52:53], v[222:223], v[226:227]
	v_add_f64 v[54:55], v[224:225], v[50:51]
	v_add_f64 v[48:49], v[222:223], -v[226:227]
	v_add_f64 v[50:51], v[224:225], -v[50:51]
	;; [unrolled: 1-line block ×4, first 2 shown]
	v_add_f64 v[32:33], v[178:179], v[36:37]
	v_add_f64 v[34:35], v[182:183], v[38:39]
	v_add_f64 v[36:37], v[178:179], -v[36:37]
	v_add_f64 v[38:39], v[182:183], -v[38:39]
	ds_write_b128 v40, v[24:27]
	ds_write_b128 v40, v[32:35] offset:160
	ds_write_b128 v40, v[52:55] offset:320
	;; [unrolled: 1-line block ×5, first 2 shown]
	buffer_load_dword v40, off, s[24:27], 0 offset:396 ; 4-byte Folded Reload
	v_add_f64 v[222:223], v[168:169], v[76:77]
	v_add_f64 v[224:225], v[234:235], v[168:169]
	v_fmac_f64_e32 v[234:235], -0.5, v[222:223]
	v_add_f64 v[226:227], v[172:173], -v[78:79]
	v_fma_f64 v[222:223], s[0:1], v[226:227], v[234:235]
	v_fmac_f64_e32 v[234:235], s[4:5], v[226:227]
	v_add_f64 v[226:227], v[236:237], v[172:173]
	v_add_f64 v[172:173], v[172:173], v[78:79]
	v_fmac_f64_e32 v[236:237], -0.5, v[172:173]
	v_add_f64 v[172:173], v[168:169], -v[76:77]
	v_fma_f64 v[168:169], s[4:5], v[172:173], v[236:237]
	v_fmac_f64_e32 v[236:237], s[0:1], v[172:173]
	v_add_f64 v[172:173], v[60:61], v[80:81]
	v_add_f64 v[230:231], v[62:63], -v[82:83]
	v_add_f64 v[232:233], v[58:59], v[62:63]
	v_add_f64 v[62:63], v[62:63], v[82:83]
	;; [unrolled: 1-line block ×3, first 2 shown]
	v_fmac_f64_e32 v[56:57], -0.5, v[172:173]
	v_fmac_f64_e32 v[58:59], -0.5, v[62:63]
	v_add_f64 v[60:61], v[60:61], -v[80:81]
	v_fma_f64 v[172:173], s[0:1], v[230:231], v[56:57]
	v_fmac_f64_e32 v[56:57], s[4:5], v[230:231]
	v_fma_f64 v[230:231], s[4:5], v[60:61], v[58:59]
	v_fmac_f64_e32 v[58:59], s[0:1], v[60:61]
	v_mul_f64 v[238:239], v[58:59], s[0:1]
	v_mul_f64 v[58:59], v[58:59], -0.5
	v_add_f64 v[28:29], v[224:225], v[76:77]
	v_add_f64 v[30:31], v[226:227], v[78:79]
	;; [unrolled: 1-line block ×4, first 2 shown]
	v_mul_f64 v[36:37], v[230:231], s[0:1]
	v_mul_f64 v[38:39], v[230:231], 0.5
	v_fmac_f64_e32 v[238:239], -0.5, v[56:57]
	v_fmac_f64_e32 v[58:59], s[4:5], v[56:57]
	v_add_f64 v[24:25], v[28:29], v[32:33]
	v_add_f64 v[26:27], v[30:31], v[34:35]
	v_fmac_f64_e32 v[36:37], 0.5, v[172:173]
	v_fmac_f64_e32 v[38:39], s[4:5], v[172:173]
	v_add_f64 v[60:61], v[234:235], v[238:239]
	v_add_f64 v[62:63], v[236:237], v[58:59]
	v_add_f64 v[56:57], v[234:235], -v[238:239]
	v_add_f64 v[58:59], v[236:237], -v[58:59]
	;; [unrolled: 1-line block ×4, first 2 shown]
	v_add_f64 v[32:33], v[222:223], v[36:37]
	v_add_f64 v[34:35], v[168:169], v[38:39]
	v_add_f64 v[36:37], v[222:223], -v[36:37]
	v_add_f64 v[38:39], v[168:169], -v[38:39]
	s_waitcnt vmcnt(0)
	ds_write_b128 v40, v[24:27]
	ds_write_b128 v40, v[32:35] offset:160
	ds_write_b128 v40, v[60:63] offset:320
	;; [unrolled: 1-line block ×5, first 2 shown]
	buffer_load_dword v40, off, s[24:27], 0 offset:392 ; 4-byte Folded Reload
	v_add_f64 v[234:235], v[138:139], v[68:69]
	v_add_f64 v[236:237], v[20:21], v[138:139]
	v_fmac_f64_e32 v[20:21], -0.5, v[234:235]
	v_add_f64 v[238:239], v[144:145], -v[70:71]
	v_fma_f64 v[234:235], s[0:1], v[238:239], v[20:21]
	v_fmac_f64_e32 v[20:21], s[4:5], v[238:239]
	v_add_f64 v[238:239], v[22:23], v[144:145]
	v_add_f64 v[144:145], v[144:145], v[70:71]
	v_fmac_f64_e32 v[22:23], -0.5, v[144:145]
	v_add_f64 v[144:145], v[138:139], -v[68:69]
	v_fma_f64 v[138:139], s[4:5], v[144:145], v[22:23]
	v_fmac_f64_e32 v[22:23], s[0:1], v[144:145]
	;; [unrolled: 6-line block ×4, first 2 shown]
	v_mul_f64 v[136:137], v[66:67], s[0:1]
	v_mul_f64 v[244:245], v[66:67], -0.5
	v_fmac_f64_e32 v[136:137], -0.5, v[64:65]
	v_fmac_f64_e32 v[244:245], s[4:5], v[64:65]
	v_add_f64 v[28:29], v[236:237], v[68:69]
	v_add_f64 v[30:31], v[238:239], v[70:71]
	;; [unrolled: 1-line block ×4, first 2 shown]
	v_mul_f64 v[36:37], v[128:129], s[0:1]
	v_mul_f64 v[38:39], v[128:129], 0.5
	v_add_f64 v[64:65], v[20:21], v[136:137]
	v_add_f64 v[66:67], v[22:23], v[244:245]
	v_add_f64 v[20:21], v[20:21], -v[136:137]
	v_add_f64 v[22:23], v[22:23], -v[244:245]
	v_add_f64 v[24:25], v[28:29], v[32:33]
	v_add_f64 v[26:27], v[30:31], v[34:35]
	v_fmac_f64_e32 v[36:37], 0.5, v[144:145]
	v_fmac_f64_e32 v[38:39], s[4:5], v[144:145]
	v_add_f64 v[28:29], v[28:29], -v[32:33]
	v_add_f64 v[30:31], v[30:31], -v[34:35]
	v_add_f64 v[32:33], v[234:235], v[36:37]
	v_add_f64 v[34:35], v[138:139], v[38:39]
	v_add_f64 v[36:37], v[234:235], -v[36:37]
	v_add_f64 v[38:39], v[138:139], -v[38:39]
	s_waitcnt vmcnt(0)
	ds_write_b128 v40, v[24:27]
	ds_write_b128 v40, v[32:35] offset:160
	ds_write_b128 v40, v[64:67] offset:320
	;; [unrolled: 1-line block ×5, first 2 shown]
	s_waitcnt lgkmcnt(0)
	; wave barrier
	s_waitcnt lgkmcnt(0)
	ds_read_b128 v[24:27], v164 offset:5760
	ds_read_b128 v[20:23], v164 offset:4800
	v_accvgpr_read_b32 v69, a23
	v_accvgpr_read_b32 v68, a22
	;; [unrolled: 1-line block ×3, first 2 shown]
	s_waitcnt lgkmcnt(1)
	v_mul_f64 v[120:121], v[14:15], v[26:27]
	v_fmac_f64_e32 v[120:121], v[12:13], v[24:25]
	v_mul_f64 v[24:25], v[14:15], v[24:25]
	v_fma_f64 v[122:123], v[12:13], v[26:27], -v[24:25]
	ds_read_b128 v[26:29], v164 offset:6720
	ds_read_b128 v[30:33], v164 offset:7680
	v_accvgpr_read_b32 v66, a20
	v_accvgpr_read_b32 v113, a87
	;; [unrolled: 1-line block ×3, first 2 shown]
	s_waitcnt lgkmcnt(1)
	v_mul_f64 v[24:25], v[14:15], v[28:29]
	v_mul_f64 v[14:15], v[14:15], v[26:27]
	v_fmac_f64_e32 v[24:25], v[12:13], v[26:27]
	v_fma_f64 v[12:13], v[12:13], v[28:29], -v[14:15]
	ds_read_b128 v[26:29], v164 offset:11520
	ds_read_b128 v[46:49], v164 offset:10560
	v_accvgpr_read_b32 v111, a85
	v_accvgpr_read_b32 v110, a84
	s_waitcnt lgkmcnt(1)
	v_mul_f64 v[104:105], v[10:11], v[28:29]
	v_mul_f64 v[14:15], v[10:11], v[26:27]
	v_fmac_f64_e32 v[104:105], v[8:9], v[26:27]
	v_fma_f64 v[106:107], v[8:9], v[28:29], -v[14:15]
	ds_read_b128 v[26:29], v164 offset:12480
	ds_read_b128 v[34:37], v164 offset:13440
	s_waitcnt lgkmcnt(1)
	v_mul_f64 v[14:15], v[10:11], v[28:29]
	v_mul_f64 v[10:11], v[10:11], v[26:27]
	v_fmac_f64_e32 v[14:15], v[8:9], v[26:27]
	v_fma_f64 v[124:125], v[8:9], v[28:29], -v[10:11]
	ds_read_b128 v[8:11], v164 offset:17280
	ds_read_b128 v[50:53], v164 offset:16320
	;; [unrolled: 1-line block ×4, first 2 shown]
	s_waitcnt lgkmcnt(3)
	v_mul_f64 v[108:109], v[6:7], v[10:11]
	v_fmac_f64_e32 v[108:109], v[4:5], v[8:9]
	v_mul_f64 v[8:9], v[6:7], v[8:9]
	v_fma_f64 v[126:127], v[4:5], v[10:11], -v[8:9]
	s_waitcnt lgkmcnt(1)
	v_mul_f64 v[8:9], v[6:7], v[28:29]
	v_mul_f64 v[6:7], v[6:7], v[26:27]
	v_fmac_f64_e32 v[8:9], v[4:5], v[26:27]
	v_fma_f64 v[10:11], v[4:5], v[28:29], -v[6:7]
	ds_read_b128 v[4:7], v164 offset:23040
	ds_read_b128 v[96:99], v164 offset:22080
	v_accvgpr_read_b32 v26, a60
	v_accvgpr_read_b32 v28, a62
	;; [unrolled: 1-line block ×3, first 2 shown]
	s_waitcnt lgkmcnt(1)
	v_mul_f64 v[76:77], v[2:3], v[6:7]
	v_fmac_f64_e32 v[76:77], v[0:1], v[4:5]
	v_mul_f64 v[4:5], v[2:3], v[4:5]
	v_fma_f64 v[78:79], v[0:1], v[6:7], -v[4:5]
	ds_read_b128 v[4:7], v164 offset:24000
	ds_read_b128 v[42:45], v164 offset:24960
	v_accvgpr_read_b32 v27, a61
	v_add_f64 v[130:131], v[24:25], v[8:9]
	v_add_f64 v[134:135], v[12:13], v[10:11]
	s_waitcnt lgkmcnt(1)
	v_mul_f64 v[72:73], v[2:3], v[6:7]
	v_mul_f64 v[2:3], v[2:3], v[4:5]
	v_fmac_f64_e32 v[72:73], v[0:1], v[4:5]
	v_fma_f64 v[74:75], v[0:1], v[6:7], -v[2:3]
	ds_read_b128 v[0:3], v164 offset:28800
	ds_read_b128 v[4:7], v164 offset:27840
	s_waitcnt lgkmcnt(1)
	v_mul_f64 v[84:85], v[18:19], v[2:3]
	v_fmac_f64_e32 v[84:85], v[16:17], v[0:1]
	v_mul_f64 v[0:1], v[18:19], v[0:1]
	v_fma_f64 v[88:89], v[16:17], v[2:3], -v[0:1]
	ds_read_b128 v[0:3], v164 offset:29760
	ds_read_b128 v[54:57], v164 offset:30720
	s_waitcnt lgkmcnt(1)
	v_mul_f64 v[80:81], v[18:19], v[2:3]
	v_fmac_f64_e32 v[80:81], v[16:17], v[0:1]
	v_mul_f64 v[0:1], v[18:19], v[0:1]
	v_fma_f64 v[82:83], v[16:17], v[2:3], -v[0:1]
	v_mul_f64 v[16:17], v[28:29], v[32:33]
	v_mul_f64 v[0:1], v[28:29], v[30:31]
	v_fmac_f64_e32 v[16:17], v[26:27], v[30:31]
	v_fma_f64 v[18:19], v[26:27], v[32:33], -v[0:1]
	v_accvgpr_read_b32 v26, a32
	v_accvgpr_read_b32 v28, a34
	;; [unrolled: 1-line block ×3, first 2 shown]
	v_mul_f64 v[142:143], v[28:29], v[36:37]
	v_mul_f64 v[0:1], v[28:29], v[34:35]
	v_accvgpr_read_b32 v31, a27
	v_accvgpr_read_b32 v27, a33
	;; [unrolled: 1-line block ×3, first 2 shown]
	v_fmac_f64_e32 v[142:143], v[26:27], v[34:35]
	v_fma_f64 v[146:147], v[26:27], v[36:37], -v[0:1]
	v_accvgpr_read_b32 v29, a25
	v_accvgpr_read_b32 v28, a24
	v_mul_f64 v[26:27], v[30:31], v[40:41]
	v_mul_f64 v[0:1], v[30:31], v[38:39]
	v_fmac_f64_e32 v[26:27], v[28:29], v[38:39]
	v_fma_f64 v[140:141], v[28:29], v[40:41], -v[0:1]
	v_accvgpr_read_b32 v28, a28
	v_accvgpr_read_b32 v30, a30
	v_accvgpr_read_b32 v31, a31
	v_accvgpr_read_b32 v29, a29
	v_mul_f64 v[86:87], v[30:31], v[44:45]
	v_mul_f64 v[0:1], v[30:31], v[42:43]
	v_fmac_f64_e32 v[86:87], v[28:29], v[42:43]
	v_fma_f64 v[90:91], v[28:29], v[44:45], -v[0:1]
	v_accvgpr_read_b32 v28, a110
	v_accvgpr_read_b32 v30, a112
	;; [unrolled: 1-line block ×4, first 2 shown]
	s_waitcnt lgkmcnt(0)
	v_mul_f64 v[0:1], v[30:31], v[54:55]
	v_fma_f64 v[94:95], v[28:29], v[56:57], -v[0:1]
	ds_read_b128 v[0:3], v164 offset:8640
	ds_read_b128 v[38:41], v164 offset:9600
	v_mul_f64 v[92:93], v[30:31], v[56:57]
	v_accvgpr_read_b32 v30, a90
	v_accvgpr_read_b32 v32, a92
	;; [unrolled: 1-line block ×3, first 2 shown]
	v_fmac_f64_e32 v[92:93], v[28:29], v[54:55]
	v_accvgpr_read_b32 v31, a91
	s_waitcnt lgkmcnt(1)
	v_mul_f64 v[28:29], v[32:33], v[2:3]
	v_fmac_f64_e32 v[28:29], v[30:31], v[0:1]
	v_mul_f64 v[0:1], v[32:33], v[0:1]
	v_fma_f64 v[30:31], v[30:31], v[2:3], -v[0:1]
	ds_read_b128 v[0:3], v164 offset:14400
	ds_read_b128 v[42:45], v164 offset:15360
	v_accvgpr_read_b32 v32, a36
	v_accvgpr_read_b32 v34, a38
	;; [unrolled: 1-line block ×4, first 2 shown]
	s_waitcnt lgkmcnt(1)
	v_mul_f64 v[144:145], v[34:35], v[2:3]
	v_fmac_f64_e32 v[144:145], v[32:33], v[0:1]
	v_mul_f64 v[0:1], v[34:35], v[0:1]
	v_fma_f64 v[148:149], v[32:33], v[2:3], -v[0:1]
	ds_read_b128 v[0:3], v164 offset:20160
	ds_read_b128 v[54:57], v164 offset:21120
	v_accvgpr_read_b32 v34, a44
	v_accvgpr_read_b32 v36, a46
	;; [unrolled: 1-line block ×4, first 2 shown]
	s_waitcnt lgkmcnt(1)
	v_mul_f64 v[32:33], v[36:37], v[2:3]
	v_fmac_f64_e32 v[32:33], v[34:35], v[0:1]
	v_mul_f64 v[0:1], v[36:37], v[0:1]
	v_fma_f64 v[34:35], v[34:35], v[2:3], -v[0:1]
	ds_read_b128 v[0:3], v164 offset:25920
	ds_read_b128 v[58:61], v164 offset:26880
	v_add_f64 v[170:171], v[16:17], v[26:27]
	v_add_f64 v[176:177], v[18:19], v[140:141]
	s_waitcnt lgkmcnt(1)
	v_mul_f64 v[64:65], v[68:69], v[2:3]
	v_fmac_f64_e32 v[64:65], v[66:67], v[0:1]
	v_mul_f64 v[0:1], v[68:69], v[0:1]
	v_fma_f64 v[66:67], v[66:67], v[2:3], -v[0:1]
	ds_read_b128 v[0:3], v164 offset:31680
	ds_read_b128 v[100:103], v164 offset:32640
	s_waitcnt lgkmcnt(1)
	v_mul_f64 v[68:69], v[112:113], v[2:3]
	v_fmac_f64_e32 v[68:69], v[110:111], v[0:1]
	v_mul_f64 v[0:1], v[112:113], v[0:1]
	v_fma_f64 v[70:71], v[110:111], v[2:3], -v[0:1]
	v_accvgpr_read_b32 v110, a114
	v_accvgpr_read_b32 v112, a116
	v_accvgpr_read_b32 v113, a117
	v_accvgpr_read_b32 v111, a115
	v_mul_f64 v[36:37], v[112:113], v[40:41]
	v_mul_f64 v[0:1], v[112:113], v[38:39]
	v_fmac_f64_e32 v[36:37], v[110:111], v[38:39]
	v_fma_f64 v[38:39], v[110:111], v[40:41], -v[0:1]
	v_accvgpr_read_b32 v113, a101
	v_accvgpr_read_b32 v112, a100
	;; [unrolled: 1-line block ×4, first 2 shown]
	v_mul_f64 v[136:137], v[112:113], v[44:45]
	v_mul_f64 v[0:1], v[112:113], v[42:43]
	v_fmac_f64_e32 v[136:137], v[110:111], v[42:43]
	v_fma_f64 v[138:139], v[110:111], v[44:45], -v[0:1]
	v_accvgpr_read_b32 v42, a48
	v_accvgpr_read_b32 v44, a50
	;; [unrolled: 1-line block ×5, first 2 shown]
	v_mul_f64 v[40:41], v[44:45], v[56:57]
	v_mul_f64 v[0:1], v[44:45], v[54:55]
	v_accvgpr_read_b32 v112, a18
	v_fmac_f64_e32 v[40:41], v[42:43], v[54:55]
	v_fma_f64 v[42:43], v[42:43], v[56:57], -v[0:1]
	v_accvgpr_read_b32 v111, a17
	v_accvgpr_read_b32 v110, a16
	v_mul_f64 v[56:57], v[112:113], v[60:61]
	v_mul_f64 v[0:1], v[112:113], v[58:59]
	v_fmac_f64_e32 v[56:57], v[110:111], v[58:59]
	v_fma_f64 v[58:59], v[110:111], v[60:61], -v[0:1]
	v_accvgpr_read_b32 v113, a43
	v_accvgpr_read_b32 v112, a42
	;; [unrolled: 1-line block ×4, first 2 shown]
	s_waitcnt lgkmcnt(0)
	v_mul_f64 v[60:61], v[112:113], v[102:103]
	v_mul_f64 v[0:1], v[112:113], v[100:101]
	v_fmac_f64_e32 v[60:61], v[110:111], v[100:101]
	v_fma_f64 v[62:63], v[110:111], v[102:103], -v[0:1]
	v_accvgpr_read_b32 v103, a67
	v_accvgpr_read_b32 v102, a66
	;; [unrolled: 1-line block ×4, first 2 shown]
	v_mul_f64 v[44:45], v[102:103], v[48:49]
	v_mul_f64 v[0:1], v[102:103], v[46:47]
	v_fmac_f64_e32 v[44:45], v[100:101], v[46:47]
	v_fma_f64 v[46:47], v[100:101], v[48:49], -v[0:1]
	v_accvgpr_read_b32 v103, a83
	v_accvgpr_read_b32 v102, a82
	;; [unrolled: 1-line block ×4, first 2 shown]
	v_mul_f64 v[116:117], v[102:103], v[52:53]
	v_fmac_f64_e32 v[116:117], v[100:101], v[50:51]
	v_mul_f64 v[0:1], v[102:103], v[50:51]
	v_accvgpr_read_b32 v48, a102
	v_accvgpr_read_b32 v50, a104
	;; [unrolled: 1-line block ×3, first 2 shown]
	v_fma_f64 v[118:119], v[100:101], v[52:53], -v[0:1]
	v_mul_f64 v[112:113], v[50:51], v[98:99]
	v_mul_f64 v[0:1], v[50:51], v[96:97]
	v_accvgpr_read_b32 v50, a52
	v_accvgpr_read_b32 v49, a103
	;; [unrolled: 1-line block ×4, first 2 shown]
	v_fmac_f64_e32 v[112:113], v[48:49], v[96:97]
	v_fma_f64 v[114:115], v[48:49], v[98:99], -v[0:1]
	v_accvgpr_read_b32 v51, a53
	v_mul_f64 v[48:49], v[52:53], v[6:7]
	v_mul_f64 v[0:1], v[52:53], v[4:5]
	v_fmac_f64_e32 v[48:49], v[50:51], v[4:5]
	v_fma_f64 v[50:51], v[50:51], v[6:7], -v[0:1]
	ds_read_b128 v[0:3], v164 offset:33600
	v_accvgpr_read_b32 v4, a106
	v_accvgpr_read_b32 v6, a108
	v_accvgpr_read_b32 v7, a109
	v_accvgpr_read_b32 v5, a107
	s_waitcnt lgkmcnt(0)
	v_mul_f64 v[52:53], v[6:7], v[2:3]
	v_fmac_f64_e32 v[52:53], v[4:5], v[0:1]
	v_mul_f64 v[0:1], v[6:7], v[0:1]
	v_fma_f64 v[54:55], v[4:5], v[2:3], -v[0:1]
	ds_read_b128 v[0:3], v164
	v_add_f64 v[4:5], v[104:105], v[76:77]
	v_add_f64 v[110:111], v[122:123], v[126:127]
	ds_read_b128 v[150:153], v164 offset:960
	ds_read_b128 v[158:161], v164 offset:1920
	;; [unrolled: 1-line block ×4, first 2 shown]
	s_waitcnt lgkmcnt(4)
	v_add_f64 v[98:99], v[0:1], v[104:105]
	v_fmac_f64_e32 v[0:1], -0.5, v[4:5]
	v_add_f64 v[4:5], v[106:107], -v[78:79]
	v_fma_f64 v[96:97], s[0:1], v[4:5], v[0:1]
	v_fmac_f64_e32 v[0:1], s[4:5], v[4:5]
	v_add_f64 v[4:5], v[106:107], v[78:79]
	v_add_f64 v[102:103], v[2:3], v[106:107]
	v_fmac_f64_e32 v[2:3], -0.5, v[4:5]
	v_add_f64 v[4:5], v[104:105], -v[76:77]
	v_fma_f64 v[100:101], s[4:5], v[4:5], v[2:3]
	v_fmac_f64_e32 v[2:3], s[0:1], v[4:5]
	v_add_f64 v[4:5], v[108:109], v[84:85]
	;; [unrolled: 6-line block ×3, first 2 shown]
	v_fmac_f64_e32 v[122:123], -0.5, v[4:5]
	v_add_f64 v[4:5], v[108:109], -v[84:85]
	v_fma_f64 v[108:109], s[4:5], v[4:5], v[122:123]
	v_fmac_f64_e32 v[122:123], s[0:1], v[4:5]
	v_mul_f64 v[126:127], v[122:123], s[0:1]
	v_mul_f64 v[122:123], v[122:123], -0.5
	v_fmac_f64_e32 v[126:127], -0.5, v[120:121]
	v_fmac_f64_e32 v[122:123], s[4:5], v[120:121]
	v_add_f64 v[120:121], v[14:15], v[72:73]
	v_add_f64 v[4:5], v[0:1], v[126:127]
	;; [unrolled: 1-line block ×3, first 2 shown]
	v_add_f64 v[0:1], v[0:1], -v[126:127]
	v_add_f64 v[2:3], v[2:3], -v[122:123]
	s_waitcnt lgkmcnt(3)
	v_add_f64 v[122:123], v[150:151], v[14:15]
	v_fmac_f64_e32 v[150:151], -0.5, v[120:121]
	v_add_f64 v[126:127], v[124:125], -v[74:75]
	v_fma_f64 v[120:121], s[0:1], v[126:127], v[150:151]
	v_fmac_f64_e32 v[150:151], s[4:5], v[126:127]
	v_add_f64 v[126:127], v[152:153], v[124:125]
	v_add_f64 v[124:125], v[124:125], v[74:75]
	v_fmac_f64_e32 v[152:153], -0.5, v[124:125]
	v_add_f64 v[14:15], v[14:15], -v[72:73]
	v_fma_f64 v[124:125], s[4:5], v[14:15], v[152:153]
	v_fmac_f64_e32 v[152:153], s[0:1], v[14:15]
	v_add_f64 v[14:15], v[8:9], v[80:81]
	v_fmac_f64_e32 v[24:25], -0.5, v[14:15]
	v_add_f64 v[14:15], v[10:11], -v[82:83]
	v_add_f64 v[10:11], v[10:11], v[82:83]
	v_fmac_f64_e32 v[12:13], -0.5, v[10:11]
	v_add_f64 v[8:9], v[8:9], -v[80:81]
	v_fma_f64 v[132:133], s[4:5], v[8:9], v[12:13]
	v_fmac_f64_e32 v[12:13], s[0:1], v[8:9]
	v_fma_f64 v[128:129], s[0:1], v[14:15], v[24:25]
	v_fmac_f64_e32 v[24:25], s[4:5], v[14:15]
	v_mul_f64 v[8:9], v[12:13], s[0:1]
	v_mul_f64 v[10:11], v[12:13], -0.5
	v_fmac_f64_e32 v[8:9], -0.5, v[24:25]
	v_fmac_f64_e32 v[10:11], s[4:5], v[24:25]
	v_add_f64 v[24:25], v[142:143], v[86:87]
	s_waitcnt lgkmcnt(2)
	v_add_f64 v[154:155], v[158:159], v[142:143]
	v_fmac_f64_e32 v[158:159], -0.5, v[24:25]
	v_add_f64 v[24:25], v[146:147], -v[90:91]
	v_add_f64 v[12:13], v[150:151], v[8:9]
	v_add_f64 v[8:9], v[150:151], -v[8:9]
	v_fma_f64 v[150:151], s[0:1], v[24:25], v[158:159]
	v_fmac_f64_e32 v[158:159], s[4:5], v[24:25]
	v_add_f64 v[24:25], v[146:147], v[90:91]
	v_add_f64 v[162:163], v[160:161], v[146:147]
	v_fmac_f64_e32 v[160:161], -0.5, v[24:25]
	v_add_f64 v[24:25], v[142:143], -v[86:87]
	v_fma_f64 v[156:157], s[4:5], v[24:25], v[160:161]
	v_fmac_f64_e32 v[160:161], s[0:1], v[24:25]
	v_add_f64 v[24:25], v[26:27], v[92:93]
	v_fmac_f64_e32 v[16:17], -0.5, v[24:25]
	v_add_f64 v[24:25], v[140:141], -v[94:95]
	v_fma_f64 v[168:169], s[0:1], v[24:25], v[16:17]
	v_fmac_f64_e32 v[16:17], s[4:5], v[24:25]
	v_add_f64 v[24:25], v[140:141], v[94:95]
	v_fmac_f64_e32 v[18:19], -0.5, v[24:25]
	v_add_f64 v[24:25], v[26:27], -v[92:93]
	v_fma_f64 v[174:175], s[4:5], v[24:25], v[18:19]
	v_fmac_f64_e32 v[18:19], s[0:1], v[24:25]
	v_mul_f64 v[140:141], v[18:19], s[0:1]
	v_fmac_f64_e32 v[140:141], -0.5, v[16:17]
	v_mul_f64 v[18:19], v[18:19], -0.5
	v_fmac_f64_e32 v[18:19], s[4:5], v[16:17]
	v_add_f64 v[24:25], v[158:159], v[140:141]
	v_add_f64 v[16:17], v[158:159], -v[140:141]
	v_add_f64 v[140:141], v[144:145], v[64:65]
	s_waitcnt lgkmcnt(1)
	v_add_f64 v[142:143], v[178:179], v[144:145]
	v_fmac_f64_e32 v[178:179], -0.5, v[140:141]
	v_add_f64 v[146:147], v[148:149], -v[66:67]
	v_fma_f64 v[140:141], s[0:1], v[146:147], v[178:179]
	v_fmac_f64_e32 v[178:179], s[4:5], v[146:147]
	v_add_f64 v[146:147], v[180:181], v[148:149]
	v_add_f64 v[148:149], v[148:149], v[66:67]
	v_fmac_f64_e32 v[180:181], -0.5, v[148:149]
	v_add_f64 v[148:149], v[144:145], -v[64:65]
	v_add_f64 v[26:27], v[160:161], v[18:19]
	v_add_f64 v[18:19], v[160:161], -v[18:19]
	v_fma_f64 v[144:145], s[4:5], v[148:149], v[180:181]
	v_fmac_f64_e32 v[180:181], s[0:1], v[148:149]
	v_add_f64 v[148:149], v[32:33], v[68:69]
	v_add_f64 v[158:159], v[34:35], -v[70:71]
	v_add_f64 v[160:161], v[30:31], v[34:35]
	v_add_f64 v[34:35], v[34:35], v[70:71]
	;; [unrolled: 1-line block ×3, first 2 shown]
	v_add_f64 v[10:11], v[152:153], -v[10:11]
	v_add_f64 v[152:153], v[28:29], v[32:33]
	v_fmac_f64_e32 v[28:29], -0.5, v[148:149]
	v_fmac_f64_e32 v[30:31], -0.5, v[34:35]
	v_add_f64 v[32:33], v[32:33], -v[68:69]
	v_fma_f64 v[148:149], s[0:1], v[158:159], v[28:29]
	v_fmac_f64_e32 v[28:29], s[4:5], v[158:159]
	v_fma_f64 v[158:159], s[4:5], v[32:33], v[30:31]
	v_fmac_f64_e32 v[30:31], s[0:1], v[32:33]
	v_mul_f64 v[166:167], v[30:31], s[0:1]
	v_fmac_f64_e32 v[166:167], -0.5, v[28:29]
	v_mul_f64 v[30:31], v[30:31], -0.5
	v_fmac_f64_e32 v[30:31], s[4:5], v[28:29]
	v_add_f64 v[32:33], v[178:179], v[166:167]
	v_add_f64 v[28:29], v[178:179], -v[166:167]
	v_add_f64 v[166:167], v[136:137], v[56:57]
	s_waitcnt lgkmcnt(0)
	v_add_f64 v[172:173], v[186:187], v[136:137]
	v_fmac_f64_e32 v[186:187], -0.5, v[166:167]
	v_add_f64 v[178:179], v[138:139], -v[58:59]
	v_fma_f64 v[166:167], s[0:1], v[178:179], v[186:187]
	v_fmac_f64_e32 v[186:187], s[4:5], v[178:179]
	v_add_f64 v[178:179], v[188:189], v[138:139]
	v_add_f64 v[138:139], v[138:139], v[58:59]
	v_fmac_f64_e32 v[188:189], -0.5, v[138:139]
	v_add_f64 v[138:139], v[136:137], -v[56:57]
	v_fma_f64 v[136:137], s[4:5], v[138:139], v[188:189]
	v_fmac_f64_e32 v[188:189], s[0:1], v[138:139]
	v_add_f64 v[138:139], v[40:41], v[60:61]
	v_add_f64 v[182:183], v[42:43], -v[62:63]
	v_add_f64 v[184:185], v[38:39], v[42:43]
	v_add_f64 v[42:43], v[42:43], v[62:63]
	;; [unrolled: 1-line block ×3, first 2 shown]
	v_add_f64 v[30:31], v[180:181], -v[30:31]
	v_add_f64 v[180:181], v[36:37], v[40:41]
	v_fmac_f64_e32 v[36:37], -0.5, v[138:139]
	v_fmac_f64_e32 v[38:39], -0.5, v[42:43]
	v_add_f64 v[40:41], v[40:41], -v[60:61]
	v_fma_f64 v[138:139], s[0:1], v[182:183], v[36:37]
	v_fmac_f64_e32 v[36:37], s[4:5], v[182:183]
	v_fma_f64 v[182:183], s[4:5], v[40:41], v[38:39]
	v_fmac_f64_e32 v[38:39], s[0:1], v[40:41]
	v_mul_f64 v[190:191], v[38:39], s[0:1]
	v_fmac_f64_e32 v[190:191], -0.5, v[36:37]
	v_mul_f64 v[38:39], v[38:39], -0.5
	v_fmac_f64_e32 v[38:39], s[4:5], v[36:37]
	v_add_f64 v[40:41], v[186:187], v[190:191]
	v_add_f64 v[36:37], v[186:187], -v[190:191]
	v_add_f64 v[186:187], v[116:117], v[48:49]
	v_add_f64 v[42:43], v[188:189], v[38:39]
	v_add_f64 v[38:39], v[188:189], -v[38:39]
	v_add_f64 v[188:189], v[20:21], v[116:117]
	v_fmac_f64_e32 v[20:21], -0.5, v[186:187]
	v_add_f64 v[190:191], v[118:119], -v[50:51]
	v_fma_f64 v[186:187], s[0:1], v[190:191], v[20:21]
	v_fmac_f64_e32 v[20:21], s[4:5], v[190:191]
	v_add_f64 v[190:191], v[22:23], v[118:119]
	v_add_f64 v[118:119], v[118:119], v[50:51]
	v_fmac_f64_e32 v[22:23], -0.5, v[118:119]
	v_add_f64 v[118:119], v[116:117], -v[48:49]
	v_fma_f64 v[116:117], s[4:5], v[118:119], v[22:23]
	v_fmac_f64_e32 v[22:23], s[0:1], v[118:119]
	v_add_f64 v[118:119], v[112:113], v[52:53]
	;; [unrolled: 6-line block ×3, first 2 shown]
	v_add_f64 v[114:115], v[114:115], v[54:55]
	v_fmac_f64_e32 v[46:47], -0.5, v[114:115]
	v_add_f64 v[114:115], v[112:113], -v[52:53]
	v_fma_f64 v[112:113], s[4:5], v[114:115], v[46:47]
	v_fmac_f64_e32 v[46:47], s[0:1], v[114:115]
	v_mul_f64 v[224:225], v[46:47], -0.5
	v_fmac_f64_e32 v[224:225], s[4:5], v[44:45]
	v_add_f64 v[98:99], v[98:99], v[76:77]
	v_add_f64 v[102:103], v[102:103], v[78:79]
	;; [unrolled: 1-line block ×4, first 2 shown]
	v_mul_f64 v[114:115], v[46:47], s[0:1]
	v_add_f64 v[46:47], v[22:23], v[224:225]
	v_add_f64 v[22:23], v[22:23], -v[224:225]
	v_add_f64 v[76:77], v[98:99], v[84:85]
	v_add_f64 v[78:79], v[102:103], v[88:89]
	v_add_f64 v[224:225], v[98:99], -v[84:85]
	v_add_f64 v[226:227], v[102:103], -v[88:89]
	v_mul_f64 v[84:85], v[108:109], s[0:1]
	v_mul_f64 v[88:89], v[108:109], 0.5
	v_fmac_f64_e32 v[84:85], 0.5, v[104:105]
	v_fmac_f64_e32 v[88:89], s[4:5], v[104:105]
	v_add_f64 v[102:103], v[96:97], v[84:85]
	v_add_f64 v[104:105], v[100:101], v[88:89]
	v_add_f64 v[96:97], v[96:97], -v[84:85]
	v_add_f64 v[98:99], v[100:101], -v[88:89]
	v_add_f64 v[84:85], v[122:123], v[72:73]
	v_add_f64 v[88:89], v[126:127], v[74:75]
	;; [unrolled: 1-line block ×6, first 2 shown]
	v_add_f64 v[80:81], v[84:85], -v[80:81]
	v_add_f64 v[82:83], v[88:89], -v[82:83]
	v_mul_f64 v[84:85], v[132:133], s[0:1]
	v_mul_f64 v[88:89], v[132:133], 0.5
	v_fmac_f64_e32 v[84:85], 0.5, v[128:129]
	v_fmac_f64_e32 v[88:89], s[4:5], v[128:129]
	v_add_f64 v[106:107], v[120:121], v[84:85]
	v_add_f64 v[108:109], v[124:125], v[88:89]
	v_add_f64 v[120:121], v[120:121], -v[84:85]
	v_add_f64 v[122:123], v[124:125], -v[88:89]
	v_add_f64 v[88:89], v[154:155], v[86:87]
	v_add_f64 v[90:91], v[162:163], v[90:91]
	;; [unrolled: 1-line block ×4, first 2 shown]
	v_mul_f64 v[100:101], v[174:175], s[0:1]
	v_mul_f64 v[110:111], v[174:175], 0.5
	s_waitcnt lgkmcnt(0)
	; wave barrier
	ds_write_b128 v164, v[76:79]
	ds_write_b128 v164, v[102:105] offset:960
	ds_write_b128 v164, v[4:7] offset:1920
	;; [unrolled: 1-line block ×11, first 2 shown]
	v_mul_f64 v[12:13], v[158:159], s[0:1]
	v_mul_f64 v[14:15], v[158:159], 0.5
	v_add_f64 v[84:85], v[88:89], v[92:93]
	v_add_f64 v[86:87], v[90:91], v[94:95]
	v_fmac_f64_e32 v[100:101], 0.5, v[168:169]
	v_fmac_f64_e32 v[110:111], s[4:5], v[168:169]
	v_accvgpr_read_b32 v0, a3
	v_add_f64 v[4:5], v[142:143], v[64:65]
	v_add_f64 v[6:7], v[146:147], v[66:67]
	;; [unrolled: 1-line block ×4, first 2 shown]
	v_fmac_f64_e32 v[12:13], 0.5, v[148:149]
	v_fmac_f64_e32 v[14:15], s[4:5], v[148:149]
	v_add_f64 v[88:89], v[88:89], -v[92:93]
	v_add_f64 v[90:91], v[90:91], -v[94:95]
	v_add_f64 v[92:93], v[150:151], v[100:101]
	v_add_f64 v[94:95], v[156:157], v[110:111]
	v_add_f64 v[124:125], v[150:151], -v[100:101]
	v_add_f64 v[126:127], v[156:157], -v[110:111]
	ds_write_b128 v0, v[84:87] offset:11520
	ds_write_b128 v0, v[92:95] offset:12480
	ds_write_b128 v0, v[24:27] offset:13440
	ds_write_b128 v0, v[88:91] offset:14400
	ds_write_b128 v0, v[124:127] offset:15360
	ds_write_b128 v0, v[16:19] offset:16320
	v_add_f64 v[0:1], v[4:5], v[8:9]
	v_add_f64 v[2:3], v[6:7], v[10:11]
	v_add_f64 v[4:5], v[4:5], -v[8:9]
	v_add_f64 v[6:7], v[6:7], -v[10:11]
	v_add_f64 v[8:9], v[140:141], v[12:13]
	v_add_f64 v[10:11], v[144:145], v[14:15]
	v_add_f64 v[12:13], v[140:141], -v[12:13]
	v_add_f64 v[14:15], v[144:145], -v[14:15]
	v_accvgpr_read_b32 v16, a255
	ds_write_b128 v16, v[0:3] offset:17280
	ds_write_b128 v16, v[8:11] offset:18240
	;; [unrolled: 1-line block ×6, first 2 shown]
	v_mul_f64 v[12:13], v[182:183], s[0:1]
	v_mul_f64 v[14:15], v[182:183], 0.5
	v_add_f64 v[4:5], v[172:173], v[56:57]
	v_add_f64 v[6:7], v[178:179], v[58:59]
	;; [unrolled: 1-line block ×4, first 2 shown]
	v_fmac_f64_e32 v[12:13], 0.5, v[138:139]
	v_fmac_f64_e32 v[14:15], s[4:5], v[138:139]
	v_add_f64 v[0:1], v[4:5], v[8:9]
	v_add_f64 v[2:3], v[6:7], v[10:11]
	v_add_f64 v[4:5], v[4:5], -v[8:9]
	v_add_f64 v[6:7], v[6:7], -v[10:11]
	v_add_f64 v[8:9], v[166:167], v[12:13]
	v_add_f64 v[10:11], v[136:137], v[14:15]
	v_add_f64 v[12:13], v[166:167], -v[12:13]
	v_add_f64 v[14:15], v[136:137], -v[14:15]
	v_accvgpr_read_b32 v16, a254
	ds_write_b128 v16, v[0:3] offset:23040
	ds_write_b128 v16, v[8:11] offset:24000
	;; [unrolled: 1-line block ×6, first 2 shown]
	v_add_f64 v[4:5], v[188:189], v[48:49]
	v_add_f64 v[6:7], v[190:191], v[50:51]
	;; [unrolled: 1-line block ×4, first 2 shown]
	v_mul_f64 v[12:13], v[112:113], s[0:1]
	v_mul_f64 v[14:15], v[112:113], 0.5
	v_fmac_f64_e32 v[114:115], -0.5, v[44:45]
	v_add_f64 v[0:1], v[4:5], v[8:9]
	v_add_f64 v[2:3], v[6:7], v[10:11]
	v_add_f64 v[4:5], v[4:5], -v[8:9]
	v_add_f64 v[6:7], v[6:7], -v[10:11]
	v_fmac_f64_e32 v[12:13], 0.5, v[118:119]
	v_fmac_f64_e32 v[14:15], s[4:5], v[118:119]
	v_accvgpr_read_b32 v16, a177
	v_add_f64 v[44:45], v[20:21], v[114:115]
	v_add_f64 v[20:21], v[20:21], -v[114:115]
	v_add_f64 v[8:9], v[186:187], v[12:13]
	v_add_f64 v[10:11], v[116:117], v[14:15]
	v_add_f64 v[12:13], v[186:187], -v[12:13]
	v_add_f64 v[14:15], v[116:117], -v[14:15]
	ds_write_b128 v16, v[0:3] offset:28800
	ds_write_b128 v16, v[8:11] offset:29760
	;; [unrolled: 1-line block ×6, first 2 shown]
	s_waitcnt lgkmcnt(0)
	; wave barrier
	s_waitcnt lgkmcnt(0)
	ds_read_b128 v[4:7], v164 offset:5760
	ds_read_b128 v[0:3], v164 offset:4800
	v_accvgpr_read_b32 v10, a68
	v_accvgpr_read_b32 v12, a70
	v_accvgpr_read_b32 v13, a71
	v_accvgpr_read_b32 v11, a69
	s_waitcnt lgkmcnt(1)
	v_mul_f64 v[8:9], v[12:13], v[6:7]
	v_fmac_f64_e32 v[8:9], v[10:11], v[4:5]
	v_mul_f64 v[4:5], v[12:13], v[4:5]
	v_fma_f64 v[4:5], v[10:11], v[6:7], -v[4:5]
	ds_read_b128 v[10:13], v164 offset:11520
	ds_read_b128 v[88:91], v164 offset:10560
	v_accvgpr_read_b32 v14, a122
	v_accvgpr_read_b32 v16, a124
	v_accvgpr_read_b32 v17, a125
	v_accvgpr_read_b32 v15, a123
	s_waitcnt lgkmcnt(1)
	v_mul_f64 v[6:7], v[16:17], v[12:13]
	v_fmac_f64_e32 v[6:7], v[14:15], v[10:11]
	v_mul_f64 v[10:11], v[16:17], v[10:11]
	v_fma_f64 v[126:127], v[14:15], v[12:13], -v[10:11]
	ds_read_b128 v[10:13], v164 offset:17280
	ds_read_b128 v[92:95], v164 offset:16320
	v_accvgpr_read_b32 v14, a118
	v_accvgpr_read_b32 v16, a120
	v_accvgpr_read_b32 v17, a121
	v_accvgpr_read_b32 v15, a119
	s_waitcnt lgkmcnt(1)
	v_mul_f64 v[128:129], v[16:17], v[12:13]
	v_fmac_f64_e32 v[128:129], v[14:15], v[10:11]
	v_mul_f64 v[10:11], v[16:17], v[10:11]
	v_fma_f64 v[130:131], v[14:15], v[12:13], -v[10:11]
	ds_read_b128 v[10:13], v164 offset:23040
	ds_read_b128 v[96:99], v164 offset:22080
	v_accvgpr_read_b32 v14, a94
	v_accvgpr_read_b32 v16, a96
	v_accvgpr_read_b32 v17, a97
	v_accvgpr_read_b32 v15, a95
	s_waitcnt lgkmcnt(1)
	v_mul_f64 v[48:49], v[16:17], v[12:13]
	v_fmac_f64_e32 v[48:49], v[14:15], v[10:11]
	v_mul_f64 v[10:11], v[16:17], v[10:11]
	v_fma_f64 v[50:51], v[14:15], v[12:13], -v[10:11]
	ds_read_b128 v[10:13], v164 offset:28800
	ds_read_b128 v[100:103], v164 offset:27840
	;; [unrolled: 1-line block ×4, first 2 shown]
	v_accvgpr_read_b32 v34, a190
	v_accvgpr_read_b32 v36, a192
	s_waitcnt lgkmcnt(3)
	v_mul_f64 v[52:53], v[214:215], v[12:13]
	v_fmac_f64_e32 v[52:53], v[212:213], v[10:11]
	v_mul_f64 v[10:11], v[214:215], v[10:11]
	v_fma_f64 v[54:55], v[212:213], v[12:13], -v[10:11]
	s_waitcnt lgkmcnt(1)
	v_mul_f64 v[12:13], v[218:219], v[16:17]
	v_mul_f64 v[10:11], v[218:219], v[14:15]
	v_fmac_f64_e32 v[12:13], v[216:217], v[14:15]
	v_fma_f64 v[14:15], v[216:217], v[16:17], -v[10:11]
	ds_read_b128 v[16:19], v164 offset:12480
	ds_read_b128 v[26:29], v164 offset:13440
	v_accvgpr_read_b32 v37, a193
	v_accvgpr_read_b32 v35, a191
	;; [unrolled: 1-line block ×3, first 2 shown]
	s_waitcnt lgkmcnt(1)
	v_mul_f64 v[10:11], v[210:211], v[16:17]
	v_mul_f64 v[124:125], v[210:211], v[18:19]
	v_fma_f64 v[132:133], v[208:209], v[18:19], -v[10:11]
	ds_read_b128 v[18:21], v164 offset:18240
	ds_read_b128 v[30:33], v164 offset:19200
	v_fmac_f64_e32 v[124:125], v[208:209], v[16:17]
	v_accvgpr_read_b32 v44, a152
	v_accvgpr_read_b32 v45, a153
	s_waitcnt lgkmcnt(1)
	v_mul_f64 v[16:17], v[36:37], v[20:21]
	v_mul_f64 v[10:11], v[36:37], v[18:19]
	v_fmac_f64_e32 v[16:17], v[34:35], v[18:19]
	v_fma_f64 v[18:19], v[34:35], v[20:21], -v[10:11]
	ds_read_b128 v[34:37], v164 offset:24000
	ds_read_b128 v[38:41], v164 offset:24960
	v_accvgpr_read_b32 v43, a151
	v_accvgpr_read_b32 v62, a206
	;; [unrolled: 1-line block ×3, first 2 shown]
	s_waitcnt lgkmcnt(1)
	v_mul_f64 v[56:57], v[44:45], v[36:37]
	v_mul_f64 v[10:11], v[44:45], v[34:35]
	v_fmac_f64_e32 v[56:57], v[42:43], v[34:35]
	v_fma_f64 v[58:59], v[42:43], v[36:37], -v[10:11]
	ds_read_b128 v[34:37], v164 offset:29760
	ds_read_b128 v[42:45], v164 offset:30720
	v_accvgpr_read_b32 v65, a209
	v_accvgpr_read_b32 v63, a207
	v_mul_f64 v[20:21], v[206:207], v[24:25]
	s_waitcnt lgkmcnt(1)
	v_mul_f64 v[60:61], v[64:65], v[36:37]
	v_mul_f64 v[10:11], v[64:65], v[34:35]
	v_fmac_f64_e32 v[60:61], v[62:63], v[34:35]
	v_fma_f64 v[62:63], v[62:63], v[36:37], -v[10:11]
	v_mul_f64 v[10:11], v[206:207], v[22:23]
	v_fmac_f64_e32 v[20:21], v[204:205], v[22:23]
	v_fma_f64 v[22:23], v[204:205], v[24:25], -v[10:11]
	v_mul_f64 v[144:145], v[198:199], v[28:29]
	v_mul_f64 v[10:11], v[198:199], v[26:27]
	v_fmac_f64_e32 v[144:145], v[196:197], v[26:27]
	v_fma_f64 v[150:151], v[196:197], v[28:29], -v[10:11]
	v_accvgpr_read_b32 v26, a182
	v_accvgpr_read_b32 v28, a184
	;; [unrolled: 1-line block ×4, first 2 shown]
	v_mul_f64 v[24:25], v[28:29], v[32:33]
	v_fmac_f64_e32 v[24:25], v[26:27], v[30:31]
	v_mul_f64 v[10:11], v[28:29], v[30:31]
	v_accvgpr_read_b32 v28, a142
	v_accvgpr_read_b32 v30, a144
	;; [unrolled: 1-line block ×3, first 2 shown]
	v_fma_f64 v[26:27], v[26:27], v[32:33], -v[10:11]
	v_accvgpr_read_b32 v29, a143
	v_mul_f64 v[64:65], v[30:31], v[40:41]
	v_mul_f64 v[10:11], v[30:31], v[38:39]
	v_fmac_f64_e32 v[64:65], v[28:29], v[38:39]
	v_fma_f64 v[66:67], v[28:29], v[40:41], -v[10:11]
	ds_read_b128 v[30:33], v164 offset:8640
	ds_read_b128 v[38:41], v164 offset:9600
	s_waitcnt lgkmcnt(2)
	v_mul_f64 v[10:11], v[194:195], v[42:43]
	v_mul_f64 v[68:69], v[194:195], v[44:45]
	v_fma_f64 v[70:71], v[192:193], v[44:45], -v[10:11]
	s_waitcnt lgkmcnt(1)
	v_mul_f64 v[28:29], v[202:203], v[32:33]
	v_mul_f64 v[10:11], v[202:203], v[30:31]
	v_fmac_f64_e32 v[68:69], v[192:193], v[42:43]
	v_fmac_f64_e32 v[28:29], v[200:201], v[30:31]
	v_fma_f64 v[30:31], v[200:201], v[32:33], -v[10:11]
	ds_read_b128 v[32:35], v164 offset:14400
	ds_read_b128 v[42:45], v164 offset:15360
	v_accvgpr_read_b32 v72, a202
	v_accvgpr_read_b32 v74, a204
	;; [unrolled: 1-line block ×4, first 2 shown]
	s_waitcnt lgkmcnt(1)
	v_mul_f64 v[10:11], v[74:75], v[32:33]
	v_mul_f64 v[148:149], v[74:75], v[34:35]
	v_fma_f64 v[152:153], v[72:73], v[34:35], -v[10:11]
	ds_read_b128 v[34:37], v164 offset:20160
	ds_read_b128 v[80:83], v164 offset:21120
	v_fmac_f64_e32 v[148:149], v[72:73], v[32:33]
	v_accvgpr_read_b32 v72, a160
	v_accvgpr_read_b32 v74, a162
	;; [unrolled: 1-line block ×3, first 2 shown]
	s_waitcnt lgkmcnt(1)
	v_mul_f64 v[32:33], v[74:75], v[36:37]
	v_mul_f64 v[10:11], v[74:75], v[34:35]
	ds_read_b128 v[74:77], v164 offset:25920
	ds_read_b128 v[84:87], v164 offset:26880
	v_accvgpr_read_b32 v107, a79
	v_accvgpr_read_b32 v73, a161
	;; [unrolled: 1-line block ×3, first 2 shown]
	v_fmac_f64_e32 v[32:33], v[72:73], v[34:35]
	v_fma_f64 v[34:35], v[72:73], v[36:37], -v[10:11]
	v_accvgpr_read_b32 v105, a77
	v_accvgpr_read_b32 v104, a76
	s_waitcnt lgkmcnt(1)
	v_mul_f64 v[72:73], v[106:107], v[76:77]
	v_mul_f64 v[10:11], v[106:107], v[74:75]
	v_fmac_f64_e32 v[72:73], v[104:105], v[74:75]
	v_fma_f64 v[74:75], v[104:105], v[76:77], -v[10:11]
	ds_read_b128 v[104:107], v164 offset:31680
	ds_read_b128 v[108:111], v164 offset:32640
	v_accvgpr_read_b32 v112, a178
	v_accvgpr_read_b32 v114, a180
	;; [unrolled: 1-line block ×4, first 2 shown]
	s_waitcnt lgkmcnt(1)
	v_mul_f64 v[76:77], v[114:115], v[106:107]
	v_mul_f64 v[10:11], v[114:115], v[104:105]
	v_fmac_f64_e32 v[76:77], v[112:113], v[104:105]
	v_fma_f64 v[78:79], v[112:113], v[106:107], -v[10:11]
	v_accvgpr_read_b32 v104, a186
	v_accvgpr_read_b32 v106, a188
	;; [unrolled: 1-line block ×4, first 2 shown]
	v_mul_f64 v[36:37], v[106:107], v[40:41]
	v_mul_f64 v[10:11], v[106:107], v[38:39]
	v_fmac_f64_e32 v[36:37], v[104:105], v[38:39]
	v_fma_f64 v[38:39], v[104:105], v[40:41], -v[10:11]
	v_accvgpr_read_b32 v104, a168
	v_accvgpr_read_b32 v106, a170
	;; [unrolled: 1-line block ×4, first 2 shown]
	v_mul_f64 v[136:137], v[106:107], v[44:45]
	v_mul_f64 v[10:11], v[106:107], v[42:43]
	v_fmac_f64_e32 v[136:137], v[104:105], v[42:43]
	v_fma_f64 v[138:139], v[104:105], v[44:45], -v[10:11]
	v_accvgpr_read_b32 v42, a156
	v_accvgpr_read_b32 v44, a158
	;; [unrolled: 1-line block ×3, first 2 shown]
	v_mul_f64 v[40:41], v[44:45], v[82:83]
	v_mul_f64 v[10:11], v[44:45], v[80:81]
	v_accvgpr_read_b32 v44, a72
	v_accvgpr_read_b32 v43, a157
	;; [unrolled: 1-line block ×4, first 2 shown]
	v_fmac_f64_e32 v[40:41], v[42:43], v[80:81]
	v_fma_f64 v[42:43], v[42:43], v[82:83], -v[10:11]
	v_accvgpr_read_b32 v45, a73
	v_mul_f64 v[80:81], v[46:47], v[86:87]
	v_mul_f64 v[10:11], v[46:47], v[84:85]
	v_fmac_f64_e32 v[80:81], v[44:45], v[84:85]
	v_fma_f64 v[82:83], v[44:45], v[86:87], -v[10:11]
	v_accvgpr_read_b32 v44, a164
	v_accvgpr_read_b32 v46, a166
	;; [unrolled: 1-line block ×5, first 2 shown]
	s_waitcnt lgkmcnt(0)
	v_mul_f64 v[84:85], v[46:47], v[110:111]
	v_mul_f64 v[10:11], v[46:47], v[108:109]
	v_accvgpr_read_b32 v106, a196
	v_accvgpr_read_b32 v107, a197
	v_fmac_f64_e32 v[84:85], v[44:45], v[108:109]
	v_fma_f64 v[86:87], v[44:45], v[110:111], -v[10:11]
	v_accvgpr_read_b32 v105, a195
	v_mul_f64 v[44:45], v[106:107], v[90:91]
	v_mul_f64 v[10:11], v[106:107], v[88:89]
	v_fmac_f64_e32 v[44:45], v[104:105], v[88:89]
	v_fma_f64 v[46:47], v[104:105], v[90:91], -v[10:11]
	v_accvgpr_read_b32 v88, a198
	v_accvgpr_read_b32 v90, a200
	;; [unrolled: 1-line block ×4, first 2 shown]
	v_mul_f64 v[116:117], v[90:91], v[94:95]
	v_mul_f64 v[10:11], v[90:91], v[92:93]
	v_fmac_f64_e32 v[116:117], v[88:89], v[92:93]
	v_fma_f64 v[118:119], v[88:89], v[94:95], -v[10:11]
	v_accvgpr_read_b32 v88, a146
	v_accvgpr_read_b32 v90, a148
	v_accvgpr_read_b32 v91, a149
	v_accvgpr_read_b32 v89, a147
	v_mul_f64 v[112:113], v[90:91], v[98:99]
	v_fmac_f64_e32 v[112:113], v[88:89], v[96:97]
	v_mul_f64 v[10:11], v[90:91], v[96:97]
	v_accvgpr_read_b32 v93, a59
	ds_read_b128 v[94:97], v164 offset:33600
	ds_read_b128 v[120:123], v164
	v_accvgpr_read_b32 v92, a58
	v_fma_f64 v[114:115], v[88:89], v[98:99], -v[10:11]
	v_accvgpr_read_b32 v91, a57
	v_accvgpr_read_b32 v90, a56
	v_mul_f64 v[88:89], v[92:93], v[102:103]
	v_fmac_f64_e32 v[88:89], v[90:91], v[100:101]
	v_mul_f64 v[10:11], v[92:93], v[100:101]
	v_accvgpr_read_b32 v98, a172
	v_accvgpr_read_b32 v100, a174
	;; [unrolled: 1-line block ×3, first 2 shown]
	v_fma_f64 v[90:91], v[90:91], v[102:103], -v[10:11]
	v_accvgpr_read_b32 v99, a173
	s_waitcnt lgkmcnt(1)
	v_mul_f64 v[92:93], v[100:101], v[96:97]
	v_mul_f64 v[10:11], v[100:101], v[94:95]
	v_fmac_f64_e32 v[92:93], v[98:99], v[94:95]
	v_fma_f64 v[94:95], v[98:99], v[96:97], -v[10:11]
	v_add_f64 v[10:11], v[6:7], v[48:49]
	s_waitcnt lgkmcnt(0)
	v_add_f64 v[98:99], v[120:121], v[6:7]
	v_fmac_f64_e32 v[120:121], -0.5, v[10:11]
	v_add_f64 v[10:11], v[126:127], -v[50:51]
	v_fma_f64 v[96:97], s[0:1], v[10:11], v[120:121]
	v_fmac_f64_e32 v[120:121], s[4:5], v[10:11]
	v_add_f64 v[10:11], v[126:127], v[50:51]
	v_add_f64 v[102:103], v[122:123], v[126:127]
	v_fmac_f64_e32 v[122:123], -0.5, v[10:11]
	v_add_f64 v[6:7], v[6:7], -v[48:49]
	v_fma_f64 v[100:101], s[4:5], v[6:7], v[122:123]
	v_fmac_f64_e32 v[122:123], s[0:1], v[6:7]
	v_add_f64 v[6:7], v[128:129], v[52:53]
	;; [unrolled: 6-line block ×3, first 2 shown]
	v_add_f64 v[110:111], v[4:5], v[130:131]
	v_fmac_f64_e32 v[4:5], -0.5, v[6:7]
	v_add_f64 v[6:7], v[128:129], -v[52:53]
	v_fma_f64 v[108:109], s[4:5], v[6:7], v[4:5]
	v_fmac_f64_e32 v[4:5], s[0:1], v[6:7]
	ds_read_b128 v[140:143], v164 offset:960
	ds_read_b128 v[160:163], v164 offset:1920
	v_mul_f64 v[6:7], v[4:5], s[0:1]
	v_fmac_f64_e32 v[6:7], -0.5, v[8:9]
	v_mul_f64 v[126:127], v[4:5], -0.5
	v_fmac_f64_e32 v[126:127], s[4:5], v[8:9]
	v_add_f64 v[8:9], v[120:121], v[6:7]
	v_add_f64 v[4:5], v[120:121], -v[6:7]
	v_add_f64 v[120:121], v[124:125], v[56:57]
	v_add_f64 v[10:11], v[122:123], v[126:127]
	v_add_f64 v[6:7], v[122:123], -v[126:127]
	s_waitcnt lgkmcnt(1)
	v_add_f64 v[122:123], v[140:141], v[124:125]
	v_fmac_f64_e32 v[140:141], -0.5, v[120:121]
	v_add_f64 v[126:127], v[132:133], -v[58:59]
	v_add_f64 v[128:129], v[132:133], v[58:59]
	v_fma_f64 v[120:121], s[0:1], v[126:127], v[140:141]
	v_fmac_f64_e32 v[140:141], s[4:5], v[126:127]
	v_add_f64 v[126:127], v[142:143], v[132:133]
	v_fmac_f64_e32 v[142:143], -0.5, v[128:129]
	v_add_f64 v[128:129], v[124:125], -v[56:57]
	v_fma_f64 v[124:125], s[4:5], v[128:129], v[142:143]
	v_fmac_f64_e32 v[142:143], s[0:1], v[128:129]
	v_add_f64 v[128:129], v[16:17], v[60:61]
	v_add_f64 v[132:133], v[18:19], -v[62:63]
	v_add_f64 v[134:135], v[14:15], v[18:19]
	v_add_f64 v[18:19], v[18:19], v[62:63]
	;; [unrolled: 1-line block ×3, first 2 shown]
	v_fmac_f64_e32 v[12:13], -0.5, v[128:129]
	v_fmac_f64_e32 v[14:15], -0.5, v[18:19]
	v_add_f64 v[16:17], v[16:17], -v[60:61]
	v_fma_f64 v[128:129], s[0:1], v[132:133], v[12:13]
	v_fmac_f64_e32 v[12:13], s[4:5], v[132:133]
	v_fma_f64 v[132:133], s[4:5], v[16:17], v[14:15]
	v_fmac_f64_e32 v[14:15], s[0:1], v[16:17]
	v_mul_f64 v[146:147], v[14:15], s[0:1]
	v_fmac_f64_e32 v[146:147], -0.5, v[12:13]
	v_mul_f64 v[14:15], v[14:15], -0.5
	v_fmac_f64_e32 v[14:15], s[4:5], v[12:13]
	v_add_f64 v[16:17], v[140:141], v[146:147]
	v_add_f64 v[12:13], v[140:141], -v[146:147]
	v_add_f64 v[140:141], v[144:145], v[64:65]
	v_add_f64 v[18:19], v[142:143], v[14:15]
	v_add_f64 v[14:15], v[142:143], -v[14:15]
	s_waitcnt lgkmcnt(0)
	v_add_f64 v[142:143], v[160:161], v[144:145]
	v_fmac_f64_e32 v[160:161], -0.5, v[140:141]
	v_add_f64 v[146:147], v[150:151], -v[66:67]
	v_fma_f64 v[140:141], s[0:1], v[146:147], v[160:161]
	v_fmac_f64_e32 v[160:161], s[4:5], v[146:147]
	v_add_f64 v[146:147], v[162:163], v[150:151]
	v_add_f64 v[150:151], v[150:151], v[66:67]
	v_fmac_f64_e32 v[162:163], -0.5, v[150:151]
	v_add_f64 v[150:151], v[144:145], -v[64:65]
	v_fma_f64 v[144:145], s[4:5], v[150:151], v[162:163]
	v_fmac_f64_e32 v[162:163], s[0:1], v[150:151]
	v_add_f64 v[150:151], v[24:25], v[68:69]
	v_add_f64 v[156:157], v[26:27], -v[70:71]
	v_add_f64 v[158:159], v[22:23], v[26:27]
	v_add_f64 v[26:27], v[26:27], v[70:71]
	;; [unrolled: 1-line block ×3, first 2 shown]
	v_fmac_f64_e32 v[20:21], -0.5, v[150:151]
	v_fmac_f64_e32 v[22:23], -0.5, v[26:27]
	v_add_f64 v[24:25], v[24:25], -v[68:69]
	v_fma_f64 v[150:151], s[0:1], v[156:157], v[20:21]
	v_fmac_f64_e32 v[20:21], s[4:5], v[156:157]
	v_fma_f64 v[156:157], s[4:5], v[24:25], v[22:23]
	v_fmac_f64_e32 v[22:23], s[0:1], v[24:25]
	ds_read_b128 v[174:177], v164 offset:2880
	ds_read_b128 v[178:181], v164 offset:3840
	v_mul_f64 v[166:167], v[22:23], s[0:1]
	v_fmac_f64_e32 v[166:167], -0.5, v[20:21]
	v_mul_f64 v[22:23], v[22:23], -0.5
	v_fmac_f64_e32 v[22:23], s[4:5], v[20:21]
	v_add_f64 v[24:25], v[160:161], v[166:167]
	v_add_f64 v[20:21], v[160:161], -v[166:167]
	v_add_f64 v[160:161], v[148:149], v[72:73]
	v_add_f64 v[26:27], v[162:163], v[22:23]
	v_add_f64 v[22:23], v[162:163], -v[22:23]
	s_waitcnt lgkmcnt(1)
	v_add_f64 v[162:163], v[174:175], v[148:149]
	v_fmac_f64_e32 v[174:175], -0.5, v[160:161]
	v_add_f64 v[166:167], v[152:153], -v[74:75]
	v_fma_f64 v[160:161], s[0:1], v[166:167], v[174:175]
	v_fmac_f64_e32 v[174:175], s[4:5], v[166:167]
	v_add_f64 v[166:167], v[176:177], v[152:153]
	v_add_f64 v[152:153], v[152:153], v[74:75]
	v_fmac_f64_e32 v[176:177], -0.5, v[152:153]
	v_add_f64 v[152:153], v[148:149], -v[72:73]
	v_fma_f64 v[148:149], s[4:5], v[152:153], v[176:177]
	v_fmac_f64_e32 v[176:177], s[0:1], v[152:153]
	v_add_f64 v[152:153], v[32:33], v[76:77]
	v_add_f64 v[170:171], v[34:35], -v[78:79]
	v_add_f64 v[172:173], v[30:31], v[34:35]
	v_add_f64 v[34:35], v[34:35], v[78:79]
	;; [unrolled: 1-line block ×3, first 2 shown]
	v_fmac_f64_e32 v[28:29], -0.5, v[152:153]
	v_fmac_f64_e32 v[30:31], -0.5, v[34:35]
	v_add_f64 v[32:33], v[32:33], -v[76:77]
	v_fma_f64 v[152:153], s[0:1], v[170:171], v[28:29]
	v_fmac_f64_e32 v[28:29], s[4:5], v[170:171]
	v_fma_f64 v[170:171], s[4:5], v[32:33], v[30:31]
	v_fmac_f64_e32 v[30:31], s[0:1], v[32:33]
	v_mul_f64 v[182:183], v[30:31], s[0:1]
	v_mul_f64 v[30:31], v[30:31], -0.5
	v_fmac_f64_e32 v[30:31], s[4:5], v[28:29]
	v_fmac_f64_e32 v[182:183], -0.5, v[28:29]
	v_add_f64 v[34:35], v[176:177], v[30:31]
	v_add_f64 v[30:31], v[176:177], -v[30:31]
	v_add_f64 v[176:177], v[136:137], v[80:81]
	v_add_f64 v[32:33], v[174:175], v[182:183]
	v_add_f64 v[28:29], v[174:175], -v[182:183]
	s_waitcnt lgkmcnt(0)
	v_add_f64 v[174:175], v[178:179], v[136:137]
	v_fmac_f64_e32 v[178:179], -0.5, v[176:177]
	v_add_f64 v[176:177], v[138:139], -v[82:83]
	v_fma_f64 v[182:183], s[0:1], v[176:177], v[178:179]
	v_fmac_f64_e32 v[178:179], s[4:5], v[176:177]
	v_add_f64 v[176:177], v[180:181], v[138:139]
	v_add_f64 v[138:139], v[138:139], v[82:83]
	v_fmac_f64_e32 v[180:181], -0.5, v[138:139]
	v_add_f64 v[136:137], v[136:137], -v[80:81]
	v_add_f64 v[184:185], v[40:41], v[84:85]
	v_fma_f64 v[138:139], s[4:5], v[136:137], v[180:181]
	v_fmac_f64_e32 v[180:181], s[0:1], v[136:137]
	v_add_f64 v[136:137], v[36:37], v[40:41]
	v_fmac_f64_e32 v[36:37], -0.5, v[184:185]
	v_add_f64 v[184:185], v[42:43], -v[86:87]
	v_fma_f64 v[186:187], s[0:1], v[184:185], v[36:37]
	v_fmac_f64_e32 v[36:37], s[4:5], v[184:185]
	v_add_f64 v[184:185], v[38:39], v[42:43]
	v_add_f64 v[42:43], v[42:43], v[86:87]
	v_fmac_f64_e32 v[38:39], -0.5, v[42:43]
	v_add_f64 v[40:41], v[40:41], -v[84:85]
	v_fma_f64 v[188:189], s[4:5], v[40:41], v[38:39]
	v_fmac_f64_e32 v[38:39], s[0:1], v[40:41]
	v_mul_f64 v[190:191], v[38:39], s[0:1]
	v_mul_f64 v[38:39], v[38:39], -0.5
	v_fmac_f64_e32 v[38:39], s[4:5], v[36:37]
	v_fmac_f64_e32 v[190:191], -0.5, v[36:37]
	v_add_f64 v[42:43], v[180:181], v[38:39]
	v_add_f64 v[38:39], v[180:181], -v[38:39]
	v_add_f64 v[180:181], v[116:117], v[88:89]
	v_add_f64 v[40:41], v[178:179], v[190:191]
	v_add_f64 v[36:37], v[178:179], -v[190:191]
	v_add_f64 v[178:179], v[0:1], v[116:117]
	v_fmac_f64_e32 v[0:1], -0.5, v[180:181]
	v_add_f64 v[180:181], v[118:119], -v[90:91]
	v_fma_f64 v[190:191], s[0:1], v[180:181], v[0:1]
	v_fmac_f64_e32 v[0:1], s[4:5], v[180:181]
	v_add_f64 v[180:181], v[2:3], v[118:119]
	v_add_f64 v[118:119], v[118:119], v[90:91]
	;; [unrolled: 1-line block ×4, first 2 shown]
	v_fmac_f64_e32 v[2:3], -0.5, v[118:119]
	v_add_f64 v[116:117], v[116:117], -v[88:89]
	v_add_f64 v[48:49], v[98:99], v[52:53]
	v_add_f64 v[52:53], v[98:99], -v[52:53]
	v_mul_f64 v[98:99], v[108:109], s[0:1]
	v_mul_f64 v[106:107], v[108:109], 0.5
	v_fma_f64 v[192:193], s[4:5], v[116:117], v[2:3]
	v_fmac_f64_e32 v[2:3], s[0:1], v[116:117]
	v_add_f64 v[116:117], v[112:113], v[92:93]
	v_add_f64 v[102:103], v[102:103], v[50:51]
	;; [unrolled: 1-line block ×3, first 2 shown]
	v_fmac_f64_e32 v[98:99], 0.5, v[104:105]
	v_fmac_f64_e32 v[106:107], s[4:5], v[104:105]
	v_add_f64 v[194:195], v[44:45], v[112:113]
	v_fmac_f64_e32 v[44:45], -0.5, v[116:117]
	v_add_f64 v[116:117], v[114:115], -v[94:95]
	v_add_f64 v[198:199], v[46:47], v[114:115]
	v_add_f64 v[114:115], v[114:115], v[94:95]
	;; [unrolled: 1-line block ×3, first 2 shown]
	v_add_f64 v[54:55], v[102:103], -v[54:55]
	v_add_f64 v[102:103], v[96:97], v[98:99]
	v_add_f64 v[104:105], v[100:101], v[106:107]
	v_add_f64 v[96:97], v[96:97], -v[98:99]
	v_add_f64 v[98:99], v[100:101], -v[106:107]
	v_add_f64 v[100:101], v[122:123], v[56:57]
	v_add_f64 v[60:61], v[130:131], v[60:61]
	v_fmac_f64_e32 v[46:47], -0.5, v[114:115]
	v_add_f64 v[112:113], v[112:113], -v[92:93]
	v_add_f64 v[56:57], v[100:101], v[60:61]
	v_add_f64 v[60:61], v[100:101], -v[60:61]
	v_mul_f64 v[100:101], v[132:133], s[0:1]
	v_fma_f64 v[200:201], s[4:5], v[112:113], v[46:47]
	v_fmac_f64_e32 v[46:47], s[0:1], v[112:113]
	v_add_f64 v[106:107], v[126:127], v[58:59]
	v_add_f64 v[62:63], v[134:135], v[62:63]
	v_fmac_f64_e32 v[100:101], 0.5, v[128:129]
	v_fma_f64 v[196:197], s[0:1], v[116:117], v[44:45]
	v_fmac_f64_e32 v[44:45], s[4:5], v[116:117]
	v_mul_f64 v[114:115], v[46:47], -0.5
	v_add_f64 v[58:59], v[106:107], v[62:63]
	v_add_f64 v[62:63], v[106:107], -v[62:63]
	v_add_f64 v[106:107], v[120:121], v[100:101]
	v_add_f64 v[110:111], v[120:121], -v[100:101]
	v_add_f64 v[100:101], v[142:143], v[64:65]
	v_add_f64 v[68:69], v[154:155], v[68:69]
	v_fmac_f64_e32 v[114:115], s[4:5], v[44:45]
	v_add_f64 v[64:65], v[100:101], v[68:69]
	v_add_f64 v[68:69], v[100:101], -v[68:69]
	v_mul_f64 v[100:101], v[156:157], s[0:1]
	v_mul_f64 v[112:113], v[46:47], s[0:1]
	v_add_f64 v[46:47], v[2:3], v[114:115]
	v_add_f64 v[2:3], v[2:3], -v[114:115]
	v_add_f64 v[114:115], v[146:147], v[66:67]
	v_add_f64 v[70:71], v[158:159], v[70:71]
	v_fmac_f64_e32 v[100:101], 0.5, v[150:151]
	v_add_f64 v[66:67], v[114:115], v[70:71]
	v_add_f64 v[70:71], v[114:115], -v[70:71]
	v_add_f64 v[114:115], v[140:141], v[100:101]
	v_add_f64 v[118:119], v[140:141], -v[100:101]
	v_add_f64 v[100:101], v[162:163], v[72:73]
	v_add_f64 v[76:77], v[168:169], v[76:77]
	v_add_f64 v[72:73], v[100:101], v[76:77]
	v_add_f64 v[76:77], v[100:101], -v[76:77]
	v_mul_f64 v[100:101], v[170:171], s[0:1]
	v_add_f64 v[122:123], v[166:167], v[74:75]
	v_add_f64 v[78:79], v[172:173], v[78:79]
	v_fmac_f64_e32 v[100:101], 0.5, v[152:153]
	v_add_f64 v[74:75], v[122:123], v[78:79]
	v_add_f64 v[78:79], v[122:123], -v[78:79]
	v_add_f64 v[122:123], v[160:161], v[100:101]
	v_add_f64 v[126:127], v[160:161], -v[100:101]
	v_add_f64 v[100:101], v[174:175], v[80:81]
	v_add_f64 v[84:85], v[136:137], v[84:85]
	;; [unrolled: 1-line block ×3, first 2 shown]
	v_add_f64 v[84:85], v[100:101], -v[84:85]
	v_mul_f64 v[100:101], v[188:189], s[0:1]
	v_add_f64 v[130:131], v[176:177], v[82:83]
	v_add_f64 v[86:87], v[184:185], v[86:87]
	v_fmac_f64_e32 v[100:101], 0.5, v[186:187]
	v_fmac_f64_e32 v[112:113], -0.5, v[44:45]
	v_mul_f64 v[120:121], v[156:157], 0.5
	v_add_f64 v[82:83], v[130:131], v[86:87]
	v_add_f64 v[86:87], v[130:131], -v[86:87]
	v_add_f64 v[130:131], v[182:183], v[100:101]
	v_add_f64 v[134:135], v[182:183], -v[100:101]
	v_add_f64 v[100:101], v[178:179], v[88:89]
	v_add_f64 v[92:93], v[194:195], v[92:93]
	ds_write_b128 v164, v[48:51]
	ds_write_b128 v164, v[102:105] offset:5760
	ds_write_b128 v164, v[8:11] offset:11520
	;; [unrolled: 1-line block ×5, first 2 shown]
	v_accvgpr_read_b32 v6, a88
	v_add_f64 v[44:45], v[0:1], v[112:113]
	v_add_f64 v[0:1], v[0:1], -v[112:113]
	v_mul_f64 v[112:113], v[132:133], 0.5
	v_fmac_f64_e32 v[120:121], s[4:5], v[150:151]
	v_mul_f64 v[136:137], v[188:189], 0.5
	v_add_f64 v[88:89], v[100:101], v[92:93]
	v_add_f64 v[92:93], v[100:101], -v[92:93]
	v_mul_f64 v[100:101], v[200:201], s[0:1]
	v_mad_u64_u32 v[8:9], s[0:1], s10, v6, 0
	v_fmac_f64_e32 v[112:113], s[4:5], v[128:129]
	v_add_f64 v[116:117], v[144:145], v[120:121]
	v_add_f64 v[120:121], v[144:145], -v[120:121]
	v_mul_f64 v[128:129], v[170:171], 0.5
	v_fmac_f64_e32 v[136:137], s[4:5], v[186:187]
	v_mul_f64 v[144:145], v[200:201], 0.5
	v_mov_b32_e32 v4, v9
	v_fmac_f64_e32 v[128:129], s[4:5], v[152:153]
	v_add_f64 v[132:133], v[138:139], v[136:137]
	v_add_f64 v[136:137], v[138:139], -v[136:137]
	v_add_f64 v[138:139], v[180:181], v[90:91]
	v_add_f64 v[94:95], v[198:199], v[94:95]
	v_fmac_f64_e32 v[100:101], 0.5, v[196:197]
	v_fmac_f64_e32 v[144:145], s[4:5], v[196:197]
	v_mad_u64_u32 v[4:5], s[0:1], s11, v6, v[4:5]
	v_add_f64 v[108:109], v[124:125], v[112:113]
	v_add_f64 v[112:113], v[124:125], -v[112:113]
	v_add_f64 v[124:125], v[148:149], v[128:129]
	v_add_f64 v[128:129], v[148:149], -v[128:129]
	;; [unrolled: 2-line block ×3, first 2 shown]
	v_add_f64 v[138:139], v[190:191], v[100:101]
	v_add_f64 v[140:141], v[192:193], v[144:145]
	v_add_f64 v[142:143], v[190:191], -v[100:101]
	v_add_f64 v[144:145], v[192:193], -v[144:145]
	ds_write_b128 v164, v[56:59] offset:960
	ds_write_b128 v164, v[106:109] offset:6720
	;; [unrolled: 1-line block ×30, first 2 shown]
	s_waitcnt lgkmcnt(0)
	; wave barrier
	s_waitcnt lgkmcnt(0)
	ds_read_b128 v[0:3], v164
	v_mov_b32_e32 v9, v4
	ds_read_b128 v[4:7], v164 offset:33024
	buffer_load_dword v12, off, s[24:27], 0 ; 4-byte Folded Reload
	buffer_load_dword v13, off, s[24:27], 0 offset:4 ; 4-byte Folded Reload
	buffer_load_dword v14, off, s[24:27], 0 offset:8 ; 4-byte Folded Reload
	;; [unrolled: 1-line block ×3, first 2 shown]
	s_mov_b32 s4, 0xc901e574
	s_mov_b32 s5, 0x3f3e573a
	v_mov_b32_e32 v57, 0x1b00
	s_mul_i32 s10, s9, 0x1b00
	s_waitcnt vmcnt(0) lgkmcnt(1)
	v_mul_f64 v[10:11], v[14:15], v[2:3]
	v_fmac_f64_e32 v[10:11], v[12:13], v[0:1]
	v_mul_f64 v[0:1], v[14:15], v[0:1]
	v_fma_f64 v[0:1], v[12:13], v[2:3], -v[0:1]
	v_accvgpr_read_b32 v14, a2
	v_mul_f64 v[12:13], v[0:1], s[4:5]
	v_mad_u64_u32 v[0:1], s[0:1], s8, v14, 0
	v_mov_b32_e32 v2, v1
	v_mad_u64_u32 v[2:3], s[0:1], s9, v14, v[2:3]
	v_mov_b32_e32 v1, v2
	v_lshlrev_b64 v[2:3], 4, v[8:9]
	v_mov_b32_e32 v8, s3
	v_add_co_u32_e64 v54, s[0:1], s2, v2
	v_addc_co_u32_e64 v55, s[0:1], v8, v3, s[0:1]
	v_lshlrev_b64 v[8:9], 4, v[0:1]
	v_add_co_u32_e64 v16, s[0:1], v54, v8
	v_mul_f64 v[10:11], v[10:11], s[4:5]
	v_addc_co_u32_e64 v17, s[0:1], v55, v9, s[0:1]
	global_store_dwordx4 v[16:17], v[10:13], off
	ds_read_b128 v[0:3], v164 offset:3456
	ds_read_b128 v[8:11], v164 offset:4416
	buffer_load_dword v18, off, s[24:27], 0 offset:32 ; 4-byte Folded Reload
	buffer_load_dword v19, off, s[24:27], 0 offset:36 ; 4-byte Folded Reload
	;; [unrolled: 1-line block ×4, first 2 shown]
	s_mul_i32 s0, s9, 0xd8
	s_mul_hi_u32 s1, s8, 0xd8
	s_add_i32 s1, s1, s0
	s_mul_i32 s0, s8, 0xd8
	s_lshl_b64 s[2:3], s[0:1], 4
	v_mov_b32_e32 v56, s3
	s_waitcnt vmcnt(0) lgkmcnt(1)
	v_mul_f64 v[12:13], v[20:21], v[2:3]
	v_fmac_f64_e32 v[12:13], v[18:19], v[0:1]
	v_mul_f64 v[0:1], v[20:21], v[0:1]
	v_fma_f64 v[0:1], v[18:19], v[2:3], -v[0:1]
	v_add_co_u32_e64 v20, s[0:1], s2, v16
	v_mul_f64 v[12:13], v[12:13], s[4:5]
	v_mul_f64 v[14:15], v[0:1], s[4:5]
	v_addc_co_u32_e64 v21, s[0:1], v17, v56, s[0:1]
	global_store_dwordx4 v[20:21], v[12:15], off
	ds_read_b128 v[0:3], v164 offset:6912
	ds_read_b128 v[12:15], v164 offset:5376
	buffer_load_dword v22, off, s[24:27], 0 offset:16 ; 4-byte Folded Reload
	buffer_load_dword v23, off, s[24:27], 0 offset:20 ; 4-byte Folded Reload
	buffer_load_dword v24, off, s[24:27], 0 offset:24 ; 4-byte Folded Reload
	buffer_load_dword v25, off, s[24:27], 0 offset:28 ; 4-byte Folded Reload
	s_waitcnt vmcnt(0) lgkmcnt(1)
	v_mul_f64 v[16:17], v[24:25], v[2:3]
	v_fmac_f64_e32 v[16:17], v[22:23], v[0:1]
	v_mul_f64 v[0:1], v[24:25], v[0:1]
	v_fma_f64 v[0:1], v[22:23], v[2:3], -v[0:1]
	v_add_co_u32_e64 v24, s[0:1], s2, v20
	v_mul_f64 v[16:17], v[16:17], s[4:5]
	v_mul_f64 v[18:19], v[0:1], s[4:5]
	v_addc_co_u32_e64 v25, s[0:1], v21, v56, s[0:1]
	global_store_dwordx4 v[24:25], v[16:19], off
	ds_read_b128 v[0:3], v164 offset:10368
	ds_read_b128 v[16:19], v164 offset:11328
	buffer_load_dword v26, off, s[24:27], 0 offset:112 ; 4-byte Folded Reload
	buffer_load_dword v27, off, s[24:27], 0 offset:116 ; 4-byte Folded Reload
	buffer_load_dword v28, off, s[24:27], 0 offset:120 ; 4-byte Folded Reload
	buffer_load_dword v29, off, s[24:27], 0 offset:124 ; 4-byte Folded Reload
	;; [unrolled: 16-line block ×6, first 2 shown]
	v_add_co_u32_e64 v48, s[0:1], s2, v40
	v_addc_co_u32_e64 v49, s[0:1], v41, v56, s[0:1]
	s_waitcnt vmcnt(0) lgkmcnt(1)
	v_mul_f64 v[36:37], v[44:45], v[2:3]
	v_fmac_f64_e32 v[36:37], v[42:43], v[0:1]
	v_mul_f64 v[0:1], v[44:45], v[0:1]
	v_fma_f64 v[0:1], v[42:43], v[2:3], -v[0:1]
	v_mul_f64 v[36:37], v[36:37], s[4:5]
	v_mul_f64 v[38:39], v[0:1], s[4:5]
	global_store_dwordx4 v[48:49], v[36:39], off
	ds_read_b128 v[0:3], v164 offset:27648
	ds_read_b128 v[36:39], v164 offset:26112
	buffer_load_dword v42, off, s[24:27], 0 offset:288 ; 4-byte Folded Reload
	buffer_load_dword v43, off, s[24:27], 0 offset:292 ; 4-byte Folded Reload
	;; [unrolled: 1-line block ×4, first 2 shown]
	s_waitcnt vmcnt(0) lgkmcnt(1)
	v_mul_f64 v[40:41], v[44:45], v[2:3]
	v_fmac_f64_e32 v[40:41], v[42:43], v[0:1]
	v_mul_f64 v[0:1], v[44:45], v[0:1]
	v_fma_f64 v[0:1], v[42:43], v[2:3], -v[0:1]
	buffer_load_dword v3, off, s[24:27], 0 offset:48 ; 4-byte Folded Reload
	v_mul_f64 v[42:43], v[0:1], s[4:5]
	v_mul_f64 v[40:41], v[40:41], s[4:5]
	s_waitcnt vmcnt(0)
	v_mad_u64_u32 v[0:1], s[0:1], s8, v3, 0
	v_mov_b32_e32 v2, v1
	v_mad_u64_u32 v[2:3], s[0:1], s9, v3, v[2:3]
	v_mov_b32_e32 v1, v2
	v_lshlrev_b64 v[44:45], 4, v[0:1]
	v_add_co_u32_e64 v44, s[0:1], v54, v44
	v_addc_co_u32_e64 v45, s[0:1], v55, v45, s[0:1]
	global_store_dwordx4 v[44:45], v[40:43], off
	ds_read_b128 v[0:3], v164 offset:31104
	ds_read_b128 v[40:43], v164 offset:32064
	buffer_load_dword v50, off, s[24:27], 0 offset:240 ; 4-byte Folded Reload
	buffer_load_dword v51, off, s[24:27], 0 offset:244 ; 4-byte Folded Reload
	;; [unrolled: 1-line block ×4, first 2 shown]
	s_waitcnt vmcnt(0) lgkmcnt(1)
	v_mul_f64 v[44:45], v[52:53], v[2:3]
	v_fmac_f64_e32 v[44:45], v[50:51], v[0:1]
	v_mul_f64 v[0:1], v[52:53], v[0:1]
	v_fma_f64 v[0:1], v[50:51], v[2:3], -v[0:1]
	v_mad_u64_u32 v[52:53], s[0:1], s8, v57, v[48:49]
	v_mul_f64 v[44:45], v[44:45], s[4:5]
	v_mul_f64 v[46:47], v[0:1], s[4:5]
	v_add_u32_e32 v53, s10, v53
	global_store_dwordx4 v[52:53], v[44:47], off
	ds_read_b128 v[0:3], v164 offset:960
	ds_read_b128 v[44:47], v164 offset:1920
	buffer_load_dword v58, off, s[24:27], 0 offset:176 ; 4-byte Folded Reload
	buffer_load_dword v59, off, s[24:27], 0 offset:180 ; 4-byte Folded Reload
	;; [unrolled: 1-line block ×4, first 2 shown]
	s_mul_hi_u32 s1, s8, 0xfffff8a4
	s_mul_i32 s0, s9, 0xfffff8a4
	s_sub_i32 s1, s1, s8
	s_add_i32 s1, s1, s0
	s_mul_i32 s0, s8, 0xfffff8a4
	s_lshl_b64 s[6:7], s[0:1], 4
	v_add_co_u32_e64 v52, s[0:1], s6, v52
	s_waitcnt vmcnt(0) lgkmcnt(1)
	v_mul_f64 v[48:49], v[60:61], v[2:3]
	v_fmac_f64_e32 v[48:49], v[58:59], v[0:1]
	v_mul_f64 v[0:1], v[60:61], v[0:1]
	v_fma_f64 v[0:1], v[58:59], v[2:3], -v[0:1]
	v_mov_b32_e32 v58, s7
	v_mul_f64 v[48:49], v[48:49], s[4:5]
	v_mul_f64 v[50:51], v[0:1], s[4:5]
	v_addc_co_u32_e64 v53, s[0:1], v53, v58, s[0:1]
	global_store_dwordx4 v[52:53], v[48:51], off
	buffer_load_dword v48, off, s[24:27], 0 offset:160 ; 4-byte Folded Reload
	s_nop 0
	buffer_load_dword v49, off, s[24:27], 0 offset:164 ; 4-byte Folded Reload
	buffer_load_dword v50, off, s[24:27], 0 offset:168 ; 4-byte Folded Reload
	buffer_load_dword v51, off, s[24:27], 0 offset:172 ; 4-byte Folded Reload
	v_add_co_u32_e64 v52, s[0:1], s2, v52
	v_addc_co_u32_e64 v53, s[0:1], v53, v56, s[0:1]
	s_waitcnt vmcnt(0)
	v_mul_f64 v[0:1], v[50:51], v[10:11]
	v_mul_f64 v[2:3], v[50:51], v[8:9]
	v_fmac_f64_e32 v[0:1], v[48:49], v[8:9]
	v_fma_f64 v[2:3], v[48:49], v[10:11], -v[2:3]
	v_mul_f64 v[0:1], v[0:1], s[4:5]
	v_mul_f64 v[2:3], v[2:3], s[4:5]
	global_store_dwordx4 v[52:53], v[0:3], off
	ds_read_b128 v[8:11], v164 offset:7872
	ds_read_b128 v[0:3], v164 offset:8832
	buffer_load_dword v60, off, s[24:27], 0 offset:144 ; 4-byte Folded Reload
	buffer_load_dword v61, off, s[24:27], 0 offset:148 ; 4-byte Folded Reload
	buffer_load_dword v62, off, s[24:27], 0 offset:152 ; 4-byte Folded Reload
	buffer_load_dword v63, off, s[24:27], 0 offset:156 ; 4-byte Folded Reload
	v_add_co_u32_e64 v52, s[0:1], s2, v52
	v_addc_co_u32_e64 v53, s[0:1], v53, v56, s[0:1]
	s_waitcnt vmcnt(0) lgkmcnt(1)
	v_mul_f64 v[48:49], v[62:63], v[10:11]
	v_fmac_f64_e32 v[48:49], v[60:61], v[8:9]
	v_mul_f64 v[8:9], v[62:63], v[8:9]
	v_fma_f64 v[8:9], v[60:61], v[10:11], -v[8:9]
	v_mul_f64 v[48:49], v[48:49], s[4:5]
	v_mul_f64 v[50:51], v[8:9], s[4:5]
	global_store_dwordx4 v[52:53], v[48:51], off
	buffer_load_dword v48, off, s[24:27], 0 offset:496 ; 4-byte Folded Reload
	s_nop 0
	buffer_load_dword v49, off, s[24:27], 0 offset:500 ; 4-byte Folded Reload
	buffer_load_dword v50, off, s[24:27], 0 offset:504 ; 4-byte Folded Reload
	buffer_load_dword v51, off, s[24:27], 0 offset:508 ; 4-byte Folded Reload
	v_add_co_u32_e64 v52, s[0:1], s2, v52
	v_addc_co_u32_e64 v53, s[0:1], v53, v56, s[0:1]
	s_waitcnt vmcnt(0)
	v_mul_f64 v[8:9], v[50:51], v[18:19]
	v_mul_f64 v[10:11], v[50:51], v[16:17]
	v_fmac_f64_e32 v[8:9], v[48:49], v[16:17]
	v_fma_f64 v[10:11], v[48:49], v[18:19], -v[10:11]
	v_mul_f64 v[8:9], v[8:9], s[4:5]
	v_mul_f64 v[10:11], v[10:11], s[4:5]
	global_store_dwordx4 v[52:53], v[8:11], off
	ds_read_b128 v[16:19], v164 offset:14784
	ds_read_b128 v[8:11], v164 offset:15744
	buffer_load_dword v60, off, s[24:27], 0 offset:480 ; 4-byte Folded Reload
	buffer_load_dword v61, off, s[24:27], 0 offset:484 ; 4-byte Folded Reload
	buffer_load_dword v62, off, s[24:27], 0 offset:488 ; 4-byte Folded Reload
	buffer_load_dword v63, off, s[24:27], 0 offset:492 ; 4-byte Folded Reload
	v_add_co_u32_e64 v52, s[0:1], s2, v52
	v_addc_co_u32_e64 v53, s[0:1], v53, v56, s[0:1]
	s_waitcnt vmcnt(0) lgkmcnt(1)
	v_mul_f64 v[48:49], v[62:63], v[18:19]
	v_fmac_f64_e32 v[48:49], v[60:61], v[16:17]
	v_mul_f64 v[16:17], v[62:63], v[16:17]
	v_fma_f64 v[16:17], v[60:61], v[18:19], -v[16:17]
	v_mul_f64 v[48:49], v[48:49], s[4:5]
	v_mul_f64 v[50:51], v[16:17], s[4:5]
	;; [unrolled: 31-line block ×4, first 2 shown]
	global_store_dwordx4 v[52:53], v[48:51], off
	buffer_load_dword v48, off, s[24:27], 0 offset:400 ; 4-byte Folded Reload
	s_nop 0
	buffer_load_dword v49, off, s[24:27], 0 offset:404 ; 4-byte Folded Reload
	buffer_load_dword v50, off, s[24:27], 0 offset:408 ; 4-byte Folded Reload
	;; [unrolled: 1-line block ×3, first 2 shown]
	s_waitcnt vmcnt(0)
	v_mul_f64 v[32:33], v[50:51], v[42:43]
	v_mul_f64 v[34:35], v[50:51], v[40:41]
	v_fmac_f64_e32 v[32:33], v[48:49], v[40:41]
	v_fma_f64 v[34:35], v[48:49], v[42:43], -v[34:35]
	v_add_co_u32_e64 v40, s[0:1], s2, v52
	v_mul_f64 v[32:33], v[32:33], s[4:5]
	v_mul_f64 v[34:35], v[34:35], s[4:5]
	v_addc_co_u32_e64 v41, s[0:1], v53, v56, s[0:1]
	global_store_dwordx4 v[40:41], v[32:35], off
	buffer_load_dword v48, off, s[24:27], 0 offset:368 ; 4-byte Folded Reload
	buffer_load_dword v49, off, s[24:27], 0 offset:372 ; 4-byte Folded Reload
	;; [unrolled: 1-line block ×4, first 2 shown]
	v_add_co_u32_e64 v40, s[0:1], s6, v40
	v_addc_co_u32_e64 v41, s[0:1], v41, v58, s[0:1]
	s_waitcnt vmcnt(0)
	v_mul_f64 v[32:33], v[50:51], v[46:47]
	v_mul_f64 v[34:35], v[50:51], v[44:45]
	v_fmac_f64_e32 v[32:33], v[48:49], v[44:45]
	v_fma_f64 v[34:35], v[48:49], v[46:47], -v[34:35]
	v_mul_f64 v[32:33], v[32:33], s[4:5]
	v_mul_f64 v[34:35], v[34:35], s[4:5]
	global_store_dwordx4 v[40:41], v[32:35], off
	buffer_load_dword v42, off, s[24:27], 0 offset:352 ; 4-byte Folded Reload
	buffer_load_dword v43, off, s[24:27], 0 offset:356 ; 4-byte Folded Reload
	;; [unrolled: 1-line block ×4, first 2 shown]
	v_add_co_u32_e64 v40, s[0:1], s2, v40
	v_addc_co_u32_e64 v41, s[0:1], v41, v56, s[0:1]
	s_waitcnt vmcnt(0)
	v_mul_f64 v[32:33], v[44:45], v[14:15]
	v_fmac_f64_e32 v[32:33], v[42:43], v[12:13]
	v_mul_f64 v[12:13], v[44:45], v[12:13]
	v_fma_f64 v[12:13], v[42:43], v[14:15], -v[12:13]
	v_mul_f64 v[32:33], v[32:33], s[4:5]
	v_mul_f64 v[34:35], v[12:13], s[4:5]
	global_store_dwordx4 v[40:41], v[32:35], off
	buffer_load_dword v32, off, s[24:27], 0 offset:336 ; 4-byte Folded Reload
	s_nop 0
	buffer_load_dword v33, off, s[24:27], 0 offset:340 ; 4-byte Folded Reload
	buffer_load_dword v34, off, s[24:27], 0 offset:344 ; 4-byte Folded Reload
	;; [unrolled: 1-line block ×3, first 2 shown]
	s_waitcnt vmcnt(0)
	v_mul_f64 v[12:13], v[34:35], v[2:3]
	v_fmac_f64_e32 v[12:13], v[32:33], v[0:1]
	v_mul_f64 v[0:1], v[34:35], v[0:1]
	v_fma_f64 v[0:1], v[32:33], v[2:3], -v[0:1]
	v_add_co_u32_e64 v32, s[0:1], s2, v40
	v_mul_f64 v[12:13], v[12:13], s[4:5]
	v_mul_f64 v[14:15], v[0:1], s[4:5]
	v_addc_co_u32_e64 v33, s[0:1], v41, v56, s[0:1]
	global_store_dwordx4 v[32:33], v[12:15], off
	buffer_load_dword v12, off, s[24:27], 0 offset:320 ; 4-byte Folded Reload
	s_nop 0
	buffer_load_dword v13, off, s[24:27], 0 offset:324 ; 4-byte Folded Reload
	buffer_load_dword v14, off, s[24:27], 0 offset:328 ; 4-byte Folded Reload
	;; [unrolled: 1-line block ×3, first 2 shown]
	s_waitcnt vmcnt(0)
	v_mul_f64 v[0:1], v[14:15], v[22:23]
	v_mul_f64 v[2:3], v[14:15], v[20:21]
	buffer_load_dword v15, off, s[24:27], 0 offset:52 ; 4-byte Folded Reload
	v_fmac_f64_e32 v[0:1], v[12:13], v[20:21]
	v_fma_f64 v[2:3], v[12:13], v[22:23], -v[2:3]
	v_mul_f64 v[0:1], v[0:1], s[4:5]
	v_mul_f64 v[2:3], v[2:3], s[4:5]
	s_waitcnt vmcnt(0)
	v_mad_u64_u32 v[12:13], s[0:1], s8, v15, 0
	v_mov_b32_e32 v14, v13
	v_mad_u64_u32 v[14:15], s[0:1], s9, v15, v[14:15]
	v_mov_b32_e32 v13, v14
	v_lshlrev_b64 v[12:13], 4, v[12:13]
	v_add_co_u32_e64 v12, s[0:1], v54, v12
	v_addc_co_u32_e64 v13, s[0:1], v55, v13, s[0:1]
	global_store_dwordx4 v[12:13], v[0:3], off
	buffer_load_dword v12, off, s[24:27], 0 offset:304 ; 4-byte Folded Reload
	s_nop 0
	buffer_load_dword v13, off, s[24:27], 0 offset:308 ; 4-byte Folded Reload
	buffer_load_dword v14, off, s[24:27], 0 offset:312 ; 4-byte Folded Reload
	;; [unrolled: 1-line block ×3, first 2 shown]
	s_waitcnt vmcnt(0)
	v_mul_f64 v[0:1], v[14:15], v[10:11]
	v_mul_f64 v[2:3], v[14:15], v[8:9]
	v_fmac_f64_e32 v[0:1], v[12:13], v[8:9]
	v_fma_f64 v[2:3], v[12:13], v[10:11], -v[2:3]
	v_mad_u64_u32 v[8:9], s[0:1], s8, v57, v[32:33]
	v_mul_f64 v[0:1], v[0:1], s[4:5]
	v_mul_f64 v[2:3], v[2:3], s[4:5]
	v_add_u32_e32 v9, s10, v9
	global_store_dwordx4 v[8:9], v[0:3], off
	buffer_load_dword v10, off, s[24:27], 0 offset:272 ; 4-byte Folded Reload
	buffer_load_dword v11, off, s[24:27], 0 offset:276 ; 4-byte Folded Reload
	buffer_load_dword v12, off, s[24:27], 0 offset:280 ; 4-byte Folded Reload
	buffer_load_dword v13, off, s[24:27], 0 offset:284 ; 4-byte Folded Reload
	v_add_co_u32_e64 v8, s[0:1], s2, v8
	v_addc_co_u32_e64 v9, s[0:1], v9, v56, s[0:1]
	s_waitcnt vmcnt(0)
	v_mul_f64 v[0:1], v[12:13], v[30:31]
	v_mul_f64 v[2:3], v[12:13], v[28:29]
	v_fmac_f64_e32 v[0:1], v[10:11], v[28:29]
	v_fma_f64 v[2:3], v[10:11], v[30:31], -v[2:3]
	v_mul_f64 v[0:1], v[0:1], s[4:5]
	v_mul_f64 v[2:3], v[2:3], s[4:5]
	global_store_dwordx4 v[8:9], v[0:3], off
	buffer_load_dword v10, off, s[24:27], 0 offset:256 ; 4-byte Folded Reload
	buffer_load_dword v11, off, s[24:27], 0 offset:260 ; 4-byte Folded Reload
	buffer_load_dword v12, off, s[24:27], 0 offset:264 ; 4-byte Folded Reload
	buffer_load_dword v13, off, s[24:27], 0 offset:268 ; 4-byte Folded Reload
	v_add_co_u32_e64 v8, s[0:1], s2, v8
	v_addc_co_u32_e64 v9, s[0:1], v9, v56, s[0:1]
	s_waitcnt vmcnt(0)
	v_mul_f64 v[0:1], v[12:13], v[18:19]
	v_mul_f64 v[2:3], v[12:13], v[16:17]
	v_fmac_f64_e32 v[0:1], v[10:11], v[16:17]
	v_fma_f64 v[2:3], v[10:11], v[18:19], -v[2:3]
	v_mul_f64 v[0:1], v[0:1], s[4:5]
	v_mul_f64 v[2:3], v[2:3], s[4:5]
	;; [unrolled: 14-line block ×3, first 2 shown]
	global_store_dwordx4 v[8:9], v[0:3], off
	buffer_load_dword v10, off, s[24:27], 0 offset:208 ; 4-byte Folded Reload
	buffer_load_dword v11, off, s[24:27], 0 offset:212 ; 4-byte Folded Reload
	;; [unrolled: 1-line block ×4, first 2 shown]
	v_add_co_u32_e64 v8, s[0:1], s2, v8
	v_addc_co_u32_e64 v9, s[0:1], v9, v56, s[0:1]
	s_waitcnt vmcnt(0) lgkmcnt(0)
	v_mul_f64 v[0:1], v[12:13], v[26:27]
	v_mul_f64 v[2:3], v[12:13], v[24:25]
	v_fmac_f64_e32 v[0:1], v[10:11], v[24:25]
	v_fma_f64 v[2:3], v[10:11], v[26:27], -v[2:3]
	v_mul_f64 v[0:1], v[0:1], s[4:5]
	v_mul_f64 v[2:3], v[2:3], s[4:5]
	global_store_dwordx4 v[8:9], v[0:3], off
	buffer_load_dword v10, off, s[24:27], 0 offset:192 ; 4-byte Folded Reload
	buffer_load_dword v11, off, s[24:27], 0 offset:196 ; 4-byte Folded Reload
	;; [unrolled: 1-line block ×4, first 2 shown]
	v_add_co_u32_e64 v8, s[0:1], s2, v8
	v_addc_co_u32_e64 v9, s[0:1], v9, v56, s[0:1]
	s_waitcnt vmcnt(0)
	v_mul_f64 v[0:1], v[12:13], v[6:7]
	v_mul_f64 v[2:3], v[12:13], v[4:5]
	v_fmac_f64_e32 v[0:1], v[10:11], v[4:5]
	v_fma_f64 v[2:3], v[10:11], v[6:7], -v[2:3]
	v_mul_f64 v[0:1], v[0:1], s[4:5]
	v_mul_f64 v[2:3], v[2:3], s[4:5]
	global_store_dwordx4 v[8:9], v[0:3], off
	s_and_b64 exec, exec, vcc
	s_cbranch_execz .LBB0_15
; %bb.14:
	v_accvgpr_read_b32 v25, a1
	v_accvgpr_read_b32 v24, a0
	global_load_dwordx4 v[0:3], v[24:25], off offset:2880
	ds_read_b128 v[4:7], v164 offset:2880
	ds_read_b128 v[10:13], v164 offset:33984
	v_mov_b32_e32 v14, s7
	v_add_co_u32_e32 v8, vcc, s6, v8
	s_movk_i32 s0, 0x1000
	v_addc_co_u32_e32 v9, vcc, v9, v14, vcc
	v_add_co_u32_e32 v14, vcc, s0, v24
	v_addc_co_u32_e32 v15, vcc, 0, v25, vcc
	s_movk_i32 s0, 0x2000
	v_add_co_u32_e32 v18, vcc, s0, v24
	v_addc_co_u32_e32 v19, vcc, 0, v25, vcc
	v_mov_b32_e32 v22, s3
	s_movk_i32 s0, 0x3000
	s_waitcnt vmcnt(0) lgkmcnt(1)
	v_mul_f64 v[16:17], v[6:7], v[2:3]
	v_mul_f64 v[2:3], v[4:5], v[2:3]
	v_fmac_f64_e32 v[16:17], v[4:5], v[0:1]
	v_fma_f64 v[2:3], v[0:1], v[6:7], -v[2:3]
	v_mul_f64 v[0:1], v[16:17], s[4:5]
	v_mul_f64 v[2:3], v[2:3], s[4:5]
	global_store_dwordx4 v[8:9], v[0:3], off
	global_load_dwordx4 v[0:3], v[14:15], off offset:2240
	ds_read_b128 v[4:7], v164 offset:6336
	ds_read_b128 v[14:17], v164 offset:9792
	v_add_co_u32_e32 v8, vcc, s2, v8
	v_addc_co_u32_e32 v9, vcc, v9, v22, vcc
	s_waitcnt vmcnt(0) lgkmcnt(1)
	v_mul_f64 v[20:21], v[6:7], v[2:3]
	v_mul_f64 v[2:3], v[4:5], v[2:3]
	v_fmac_f64_e32 v[20:21], v[4:5], v[0:1]
	v_fma_f64 v[2:3], v[0:1], v[6:7], -v[2:3]
	v_mul_f64 v[0:1], v[20:21], s[4:5]
	v_mul_f64 v[2:3], v[2:3], s[4:5]
	global_store_dwordx4 v[8:9], v[0:3], off
	global_load_dwordx4 v[0:3], v[18:19], off offset:1600
	v_add_co_u32_e32 v4, vcc, s0, v24
	v_addc_co_u32_e32 v5, vcc, 0, v25, vcc
	v_add_co_u32_e32 v8, vcc, s2, v8
	v_addc_co_u32_e32 v9, vcc, v9, v22, vcc
	s_movk_i32 s0, 0x4000
	v_add_co_u32_e32 v18, vcc, s0, v24
	v_addc_co_u32_e32 v19, vcc, 0, v25, vcc
	s_movk_i32 s0, 0x5000
	s_waitcnt vmcnt(0) lgkmcnt(0)
	v_mul_f64 v[6:7], v[16:17], v[2:3]
	v_mul_f64 v[2:3], v[14:15], v[2:3]
	v_fmac_f64_e32 v[6:7], v[14:15], v[0:1]
	v_fma_f64 v[2:3], v[0:1], v[16:17], -v[2:3]
	v_mul_f64 v[0:1], v[6:7], s[4:5]
	v_mul_f64 v[2:3], v[2:3], s[4:5]
	global_store_dwordx4 v[8:9], v[0:3], off
	global_load_dwordx4 v[0:3], v[4:5], off offset:960
	ds_read_b128 v[4:7], v164 offset:13248
	ds_read_b128 v[14:17], v164 offset:16704
	v_add_co_u32_e32 v8, vcc, s2, v8
	v_addc_co_u32_e32 v9, vcc, v9, v22, vcc
	s_waitcnt vmcnt(0) lgkmcnt(1)
	v_mul_f64 v[20:21], v[6:7], v[2:3]
	v_mul_f64 v[2:3], v[4:5], v[2:3]
	v_fmac_f64_e32 v[20:21], v[4:5], v[0:1]
	v_fma_f64 v[2:3], v[0:1], v[6:7], -v[2:3]
	v_mul_f64 v[0:1], v[20:21], s[4:5]
	v_mul_f64 v[2:3], v[2:3], s[4:5]
	global_store_dwordx4 v[8:9], v[0:3], off
	global_load_dwordx4 v[0:3], v[18:19], off offset:320
	v_add_co_u32_e32 v8, vcc, s2, v8
	v_addc_co_u32_e32 v9, vcc, v9, v22, vcc
	s_waitcnt vmcnt(0) lgkmcnt(0)
	v_mul_f64 v[4:5], v[16:17], v[2:3]
	v_mul_f64 v[2:3], v[14:15], v[2:3]
	v_fmac_f64_e32 v[4:5], v[14:15], v[0:1]
	v_fma_f64 v[2:3], v[0:1], v[16:17], -v[2:3]
	v_mul_f64 v[0:1], v[4:5], s[4:5]
	v_mul_f64 v[2:3], v[2:3], s[4:5]
	global_store_dwordx4 v[8:9], v[0:3], off
	global_load_dwordx4 v[0:3], v[18:19], off offset:3776
	ds_read_b128 v[4:7], v164 offset:20160
	ds_read_b128 v[14:17], v164 offset:23616
	v_add_co_u32_e32 v18, vcc, s0, v24
	v_addc_co_u32_e32 v19, vcc, 0, v25, vcc
	v_add_co_u32_e32 v8, vcc, s2, v8
	v_addc_co_u32_e32 v9, vcc, v9, v22, vcc
	s_movk_i32 s0, 0x6000
	s_waitcnt vmcnt(0) lgkmcnt(1)
	v_mul_f64 v[20:21], v[6:7], v[2:3]
	v_mul_f64 v[2:3], v[4:5], v[2:3]
	v_fmac_f64_e32 v[20:21], v[4:5], v[0:1]
	v_fma_f64 v[2:3], v[0:1], v[6:7], -v[2:3]
	v_mul_f64 v[0:1], v[20:21], s[4:5]
	v_mul_f64 v[2:3], v[2:3], s[4:5]
	global_store_dwordx4 v[8:9], v[0:3], off
	global_load_dwordx4 v[0:3], v[18:19], off offset:3136
	v_add_co_u32_e32 v4, vcc, s0, v24
	v_addc_co_u32_e32 v5, vcc, 0, v25, vcc
	v_add_co_u32_e32 v8, vcc, s2, v8
	v_addc_co_u32_e32 v9, vcc, v9, v22, vcc
	s_movk_i32 s0, 0x7000
	v_add_co_u32_e32 v18, vcc, s0, v24
	v_addc_co_u32_e32 v19, vcc, 0, v25, vcc
	s_mov_b32 s0, 0x8000
	s_waitcnt vmcnt(0) lgkmcnt(0)
	v_mul_f64 v[6:7], v[16:17], v[2:3]
	v_mul_f64 v[2:3], v[14:15], v[2:3]
	v_fmac_f64_e32 v[6:7], v[14:15], v[0:1]
	v_fma_f64 v[2:3], v[0:1], v[16:17], -v[2:3]
	v_mul_f64 v[0:1], v[6:7], s[4:5]
	v_mul_f64 v[2:3], v[2:3], s[4:5]
	global_store_dwordx4 v[8:9], v[0:3], off
	global_load_dwordx4 v[0:3], v[4:5], off offset:2496
	ds_read_b128 v[4:7], v164 offset:27072
	ds_read_b128 v[14:17], v164 offset:30528
	v_add_co_u32_e32 v8, vcc, s2, v8
	v_addc_co_u32_e32 v9, vcc, v9, v22, vcc
	s_waitcnt vmcnt(0) lgkmcnt(1)
	v_mul_f64 v[20:21], v[6:7], v[2:3]
	v_mul_f64 v[2:3], v[4:5], v[2:3]
	v_fmac_f64_e32 v[20:21], v[4:5], v[0:1]
	v_fma_f64 v[2:3], v[0:1], v[6:7], -v[2:3]
	v_mul_f64 v[0:1], v[20:21], s[4:5]
	v_mul_f64 v[2:3], v[2:3], s[4:5]
	global_store_dwordx4 v[8:9], v[0:3], off
	global_load_dwordx4 v[0:3], v[18:19], off offset:1856
	v_add_co_u32_e32 v4, vcc, s0, v24
	v_addc_co_u32_e32 v5, vcc, 0, v25, vcc
	v_add_co_u32_e32 v6, vcc, s2, v8
	v_addc_co_u32_e32 v7, vcc, v9, v22, vcc
	s_waitcnt vmcnt(0) lgkmcnt(0)
	v_mul_f64 v[8:9], v[16:17], v[2:3]
	v_mul_f64 v[2:3], v[14:15], v[2:3]
	v_fmac_f64_e32 v[8:9], v[14:15], v[0:1]
	v_fma_f64 v[2:3], v[0:1], v[16:17], -v[2:3]
	v_mul_f64 v[0:1], v[8:9], s[4:5]
	v_mul_f64 v[2:3], v[2:3], s[4:5]
	global_store_dwordx4 v[6:7], v[0:3], off
	global_load_dwordx4 v[0:3], v[4:5], off offset:1216
	s_waitcnt vmcnt(0)
	v_mul_f64 v[4:5], v[12:13], v[2:3]
	v_mul_f64 v[2:3], v[10:11], v[2:3]
	v_fmac_f64_e32 v[4:5], v[10:11], v[0:1]
	v_fma_f64 v[2:3], v[0:1], v[12:13], -v[2:3]
	v_mul_f64 v[0:1], v[4:5], s[4:5]
	v_add_co_u32_e32 v4, vcc, s2, v6
	v_mul_f64 v[2:3], v[2:3], s[4:5]
	v_addc_co_u32_e32 v5, vcc, v7, v22, vcc
	global_store_dwordx4 v[4:5], v[0:3], off
.LBB0_15:
	s_endpgm
	.section	.rodata,"a",@progbits
	.p2align	6, 0x0
	.amdhsa_kernel bluestein_single_fwd_len2160_dim1_dp_op_CI_CI
		.amdhsa_group_segment_fixed_size 34560
		.amdhsa_private_segment_fixed_size 776
		.amdhsa_kernarg_size 104
		.amdhsa_user_sgpr_count 6
		.amdhsa_user_sgpr_private_segment_buffer 1
		.amdhsa_user_sgpr_dispatch_ptr 0
		.amdhsa_user_sgpr_queue_ptr 0
		.amdhsa_user_sgpr_kernarg_segment_ptr 1
		.amdhsa_user_sgpr_dispatch_id 0
		.amdhsa_user_sgpr_flat_scratch_init 0
		.amdhsa_user_sgpr_kernarg_preload_length 0
		.amdhsa_user_sgpr_kernarg_preload_offset 0
		.amdhsa_user_sgpr_private_segment_size 0
		.amdhsa_uses_dynamic_stack 0
		.amdhsa_system_sgpr_private_segment_wavefront_offset 1
		.amdhsa_system_sgpr_workgroup_id_x 1
		.amdhsa_system_sgpr_workgroup_id_y 0
		.amdhsa_system_sgpr_workgroup_id_z 0
		.amdhsa_system_sgpr_workgroup_info 0
		.amdhsa_system_vgpr_workitem_id 0
		.amdhsa_next_free_vgpr 512
		.amdhsa_next_free_sgpr 28
		.amdhsa_accum_offset 256
		.amdhsa_reserve_vcc 1
		.amdhsa_reserve_flat_scratch 0
		.amdhsa_float_round_mode_32 0
		.amdhsa_float_round_mode_16_64 0
		.amdhsa_float_denorm_mode_32 3
		.amdhsa_float_denorm_mode_16_64 3
		.amdhsa_dx10_clamp 1
		.amdhsa_ieee_mode 1
		.amdhsa_fp16_overflow 0
		.amdhsa_tg_split 0
		.amdhsa_exception_fp_ieee_invalid_op 0
		.amdhsa_exception_fp_denorm_src 0
		.amdhsa_exception_fp_ieee_div_zero 0
		.amdhsa_exception_fp_ieee_overflow 0
		.amdhsa_exception_fp_ieee_underflow 0
		.amdhsa_exception_fp_ieee_inexact 0
		.amdhsa_exception_int_div_zero 0
	.end_amdhsa_kernel
	.text
.Lfunc_end0:
	.size	bluestein_single_fwd_len2160_dim1_dp_op_CI_CI, .Lfunc_end0-bluestein_single_fwd_len2160_dim1_dp_op_CI_CI
                                        ; -- End function
	.section	.AMDGPU.csdata,"",@progbits
; Kernel info:
; codeLenInByte = 48948
; NumSgprs: 32
; NumVgprs: 256
; NumAgprs: 256
; TotalNumVgprs: 512
; ScratchSize: 776
; MemoryBound: 0
; FloatMode: 240
; IeeeMode: 1
; LDSByteSize: 34560 bytes/workgroup (compile time only)
; SGPRBlocks: 3
; VGPRBlocks: 63
; NumSGPRsForWavesPerEU: 32
; NumVGPRsForWavesPerEU: 512
; AccumOffset: 256
; Occupancy: 1
; WaveLimiterHint : 1
; COMPUTE_PGM_RSRC2:SCRATCH_EN: 1
; COMPUTE_PGM_RSRC2:USER_SGPR: 6
; COMPUTE_PGM_RSRC2:TRAP_HANDLER: 0
; COMPUTE_PGM_RSRC2:TGID_X_EN: 1
; COMPUTE_PGM_RSRC2:TGID_Y_EN: 0
; COMPUTE_PGM_RSRC2:TGID_Z_EN: 0
; COMPUTE_PGM_RSRC2:TIDIG_COMP_CNT: 0
; COMPUTE_PGM_RSRC3_GFX90A:ACCUM_OFFSET: 63
; COMPUTE_PGM_RSRC3_GFX90A:TG_SPLIT: 0
	.text
	.p2alignl 6, 3212836864
	.fill 256, 4, 3212836864
	.type	__hip_cuid_461859ef8f22ac19,@object ; @__hip_cuid_461859ef8f22ac19
	.section	.bss,"aw",@nobits
	.globl	__hip_cuid_461859ef8f22ac19
__hip_cuid_461859ef8f22ac19:
	.byte	0                               ; 0x0
	.size	__hip_cuid_461859ef8f22ac19, 1

	.ident	"AMD clang version 19.0.0git (https://github.com/RadeonOpenCompute/llvm-project roc-6.4.0 25133 c7fe45cf4b819c5991fe208aaa96edf142730f1d)"
	.section	".note.GNU-stack","",@progbits
	.addrsig
	.addrsig_sym __hip_cuid_461859ef8f22ac19
	.amdgpu_metadata
---
amdhsa.kernels:
  - .agpr_count:     256
    .args:
      - .actual_access:  read_only
        .address_space:  global
        .offset:         0
        .size:           8
        .value_kind:     global_buffer
      - .actual_access:  read_only
        .address_space:  global
        .offset:         8
        .size:           8
        .value_kind:     global_buffer
      - .actual_access:  read_only
        .address_space:  global
        .offset:         16
        .size:           8
        .value_kind:     global_buffer
      - .actual_access:  read_only
        .address_space:  global
        .offset:         24
        .size:           8
        .value_kind:     global_buffer
      - .actual_access:  read_only
        .address_space:  global
        .offset:         32
        .size:           8
        .value_kind:     global_buffer
      - .offset:         40
        .size:           8
        .value_kind:     by_value
      - .address_space:  global
        .offset:         48
        .size:           8
        .value_kind:     global_buffer
      - .address_space:  global
        .offset:         56
        .size:           8
        .value_kind:     global_buffer
      - .address_space:  global
        .offset:         64
        .size:           8
        .value_kind:     global_buffer
      - .address_space:  global
        .offset:         72
        .size:           8
        .value_kind:     global_buffer
      - .offset:         80
        .size:           4
        .value_kind:     by_value
      - .address_space:  global
        .offset:         88
        .size:           8
        .value_kind:     global_buffer
      - .address_space:  global
        .offset:         96
        .size:           8
        .value_kind:     global_buffer
    .group_segment_fixed_size: 34560
    .kernarg_segment_align: 8
    .kernarg_segment_size: 104
    .language:       OpenCL C
    .language_version:
      - 2
      - 0
    .max_flat_workgroup_size: 60
    .name:           bluestein_single_fwd_len2160_dim1_dp_op_CI_CI
    .private_segment_fixed_size: 776
    .sgpr_count:     32
    .sgpr_spill_count: 0
    .symbol:         bluestein_single_fwd_len2160_dim1_dp_op_CI_CI.kd
    .uniform_work_group_size: 1
    .uses_dynamic_stack: false
    .vgpr_count:     512
    .vgpr_spill_count: 193
    .wavefront_size: 64
amdhsa.target:   amdgcn-amd-amdhsa--gfx90a
amdhsa.version:
  - 1
  - 2
...

	.end_amdgpu_metadata
